;; amdgpu-corpus repo=ROCm/rocFFT kind=compiled arch=gfx906 opt=O3
	.text
	.amdgcn_target "amdgcn-amd-amdhsa--gfx906"
	.amdhsa_code_object_version 6
	.protected	fft_rtc_back_len1575_factors_3_3_5_7_5_wgs_63_tpt_63_halfLds_sp_ip_CI_sbrr_dirReg ; -- Begin function fft_rtc_back_len1575_factors_3_3_5_7_5_wgs_63_tpt_63_halfLds_sp_ip_CI_sbrr_dirReg
	.globl	fft_rtc_back_len1575_factors_3_3_5_7_5_wgs_63_tpt_63_halfLds_sp_ip_CI_sbrr_dirReg
	.p2align	8
	.type	fft_rtc_back_len1575_factors_3_3_5_7_5_wgs_63_tpt_63_halfLds_sp_ip_CI_sbrr_dirReg,@function
fft_rtc_back_len1575_factors_3_3_5_7_5_wgs_63_tpt_63_halfLds_sp_ip_CI_sbrr_dirReg: ; @fft_rtc_back_len1575_factors_3_3_5_7_5_wgs_63_tpt_63_halfLds_sp_ip_CI_sbrr_dirReg
; %bb.0:
	s_load_dwordx2 s[2:3], s[4:5], 0x18
	s_load_dwordx4 s[8:11], s[4:5], 0x0
	s_load_dwordx2 s[14:15], s[4:5], 0x50
	v_mul_u32_u24_e32 v1, 0x411, v0
	v_add_u32_sdwa v5, s6, v1 dst_sel:DWORD dst_unused:UNUSED_PAD src0_sel:DWORD src1_sel:WORD_1
	s_waitcnt lgkmcnt(0)
	s_load_dwordx2 s[12:13], s[2:3], 0x0
	v_cmp_lt_u64_e64 s[0:1], s[10:11], 2
	v_mov_b32_e32 v3, 0
	v_mov_b32_e32 v1, 0
	;; [unrolled: 1-line block ×3, first 2 shown]
	s_and_b64 vcc, exec, s[0:1]
	v_mov_b32_e32 v2, 0
	s_cbranch_vccnz .LBB0_8
; %bb.1:
	s_load_dwordx2 s[0:1], s[4:5], 0x10
	s_add_u32 s6, s2, 8
	s_addc_u32 s7, s3, 0
	v_mov_b32_e32 v1, 0
	v_mov_b32_e32 v2, 0
	s_waitcnt lgkmcnt(0)
	s_add_u32 s16, s0, 8
	s_addc_u32 s17, s1, 0
	s_mov_b64 s[18:19], 1
.LBB0_2:                                ; =>This Inner Loop Header: Depth=1
	s_load_dwordx2 s[20:21], s[16:17], 0x0
                                        ; implicit-def: $vgpr7_vgpr8
	s_waitcnt lgkmcnt(0)
	v_or_b32_e32 v4, s21, v6
	v_cmp_ne_u64_e32 vcc, 0, v[3:4]
	s_and_saveexec_b64 s[0:1], vcc
	s_xor_b64 s[22:23], exec, s[0:1]
	s_cbranch_execz .LBB0_4
; %bb.3:                                ;   in Loop: Header=BB0_2 Depth=1
	v_cvt_f32_u32_e32 v4, s20
	v_cvt_f32_u32_e32 v7, s21
	s_sub_u32 s0, 0, s20
	s_subb_u32 s1, 0, s21
	v_mac_f32_e32 v4, 0x4f800000, v7
	v_rcp_f32_e32 v4, v4
	v_mul_f32_e32 v4, 0x5f7ffffc, v4
	v_mul_f32_e32 v7, 0x2f800000, v4
	v_trunc_f32_e32 v7, v7
	v_mac_f32_e32 v4, 0xcf800000, v7
	v_cvt_u32_f32_e32 v7, v7
	v_cvt_u32_f32_e32 v4, v4
	v_mul_lo_u32 v8, s0, v7
	v_mul_hi_u32 v9, s0, v4
	v_mul_lo_u32 v11, s1, v4
	v_mul_lo_u32 v10, s0, v4
	v_add_u32_e32 v8, v9, v8
	v_add_u32_e32 v8, v8, v11
	v_mul_hi_u32 v9, v4, v10
	v_mul_lo_u32 v11, v4, v8
	v_mul_hi_u32 v13, v4, v8
	v_mul_hi_u32 v12, v7, v10
	v_mul_lo_u32 v10, v7, v10
	v_mul_hi_u32 v14, v7, v8
	v_add_co_u32_e32 v9, vcc, v9, v11
	v_addc_co_u32_e32 v11, vcc, 0, v13, vcc
	v_mul_lo_u32 v8, v7, v8
	v_add_co_u32_e32 v9, vcc, v9, v10
	v_addc_co_u32_e32 v9, vcc, v11, v12, vcc
	v_addc_co_u32_e32 v10, vcc, 0, v14, vcc
	v_add_co_u32_e32 v8, vcc, v9, v8
	v_addc_co_u32_e32 v9, vcc, 0, v10, vcc
	v_add_co_u32_e32 v4, vcc, v4, v8
	v_addc_co_u32_e32 v7, vcc, v7, v9, vcc
	v_mul_lo_u32 v8, s0, v7
	v_mul_hi_u32 v9, s0, v4
	v_mul_lo_u32 v10, s1, v4
	v_mul_lo_u32 v11, s0, v4
	v_add_u32_e32 v8, v9, v8
	v_add_u32_e32 v8, v8, v10
	v_mul_lo_u32 v12, v4, v8
	v_mul_hi_u32 v13, v4, v11
	v_mul_hi_u32 v14, v4, v8
	;; [unrolled: 1-line block ×3, first 2 shown]
	v_mul_lo_u32 v11, v7, v11
	v_mul_hi_u32 v9, v7, v8
	v_add_co_u32_e32 v12, vcc, v13, v12
	v_addc_co_u32_e32 v13, vcc, 0, v14, vcc
	v_mul_lo_u32 v8, v7, v8
	v_add_co_u32_e32 v11, vcc, v12, v11
	v_addc_co_u32_e32 v10, vcc, v13, v10, vcc
	v_addc_co_u32_e32 v9, vcc, 0, v9, vcc
	v_add_co_u32_e32 v8, vcc, v10, v8
	v_addc_co_u32_e32 v9, vcc, 0, v9, vcc
	v_add_co_u32_e32 v4, vcc, v4, v8
	v_addc_co_u32_e32 v9, vcc, v7, v9, vcc
	v_mad_u64_u32 v[7:8], s[0:1], v5, v9, 0
	v_mul_hi_u32 v10, v5, v4
	v_add_co_u32_e32 v11, vcc, v10, v7
	v_addc_co_u32_e32 v12, vcc, 0, v8, vcc
	v_mad_u64_u32 v[7:8], s[0:1], v6, v4, 0
	v_mad_u64_u32 v[9:10], s[0:1], v6, v9, 0
	v_add_co_u32_e32 v4, vcc, v11, v7
	v_addc_co_u32_e32 v4, vcc, v12, v8, vcc
	v_addc_co_u32_e32 v7, vcc, 0, v10, vcc
	v_add_co_u32_e32 v4, vcc, v4, v9
	v_addc_co_u32_e32 v9, vcc, 0, v7, vcc
	v_mul_lo_u32 v10, s21, v4
	v_mul_lo_u32 v11, s20, v9
	v_mad_u64_u32 v[7:8], s[0:1], s20, v4, 0
	v_add3_u32 v8, v8, v11, v10
	v_sub_u32_e32 v10, v6, v8
	v_mov_b32_e32 v11, s21
	v_sub_co_u32_e32 v7, vcc, v5, v7
	v_subb_co_u32_e64 v10, s[0:1], v10, v11, vcc
	v_subrev_co_u32_e64 v11, s[0:1], s20, v7
	v_subbrev_co_u32_e64 v10, s[0:1], 0, v10, s[0:1]
	v_cmp_le_u32_e64 s[0:1], s21, v10
	v_cndmask_b32_e64 v12, 0, -1, s[0:1]
	v_cmp_le_u32_e64 s[0:1], s20, v11
	v_cndmask_b32_e64 v11, 0, -1, s[0:1]
	v_cmp_eq_u32_e64 s[0:1], s21, v10
	v_cndmask_b32_e64 v10, v12, v11, s[0:1]
	v_add_co_u32_e64 v11, s[0:1], 2, v4
	v_addc_co_u32_e64 v12, s[0:1], 0, v9, s[0:1]
	v_add_co_u32_e64 v13, s[0:1], 1, v4
	v_addc_co_u32_e64 v14, s[0:1], 0, v9, s[0:1]
	v_subb_co_u32_e32 v8, vcc, v6, v8, vcc
	v_cmp_ne_u32_e64 s[0:1], 0, v10
	v_cmp_le_u32_e32 vcc, s21, v8
	v_cndmask_b32_e64 v10, v14, v12, s[0:1]
	v_cndmask_b32_e64 v12, 0, -1, vcc
	v_cmp_le_u32_e32 vcc, s20, v7
	v_cndmask_b32_e64 v7, 0, -1, vcc
	v_cmp_eq_u32_e32 vcc, s21, v8
	v_cndmask_b32_e32 v7, v12, v7, vcc
	v_cmp_ne_u32_e32 vcc, 0, v7
	v_cndmask_b32_e64 v7, v13, v11, s[0:1]
	v_cndmask_b32_e32 v8, v9, v10, vcc
	v_cndmask_b32_e32 v7, v4, v7, vcc
.LBB0_4:                                ;   in Loop: Header=BB0_2 Depth=1
	s_andn2_saveexec_b64 s[0:1], s[22:23]
	s_cbranch_execz .LBB0_6
; %bb.5:                                ;   in Loop: Header=BB0_2 Depth=1
	v_cvt_f32_u32_e32 v4, s20
	s_sub_i32 s22, 0, s20
	v_rcp_iflag_f32_e32 v4, v4
	v_mul_f32_e32 v4, 0x4f7ffffe, v4
	v_cvt_u32_f32_e32 v4, v4
	v_mul_lo_u32 v7, s22, v4
	v_mul_hi_u32 v7, v4, v7
	v_add_u32_e32 v4, v4, v7
	v_mul_hi_u32 v4, v5, v4
	v_mul_lo_u32 v7, v4, s20
	v_add_u32_e32 v8, 1, v4
	v_sub_u32_e32 v7, v5, v7
	v_subrev_u32_e32 v9, s20, v7
	v_cmp_le_u32_e32 vcc, s20, v7
	v_cndmask_b32_e32 v7, v7, v9, vcc
	v_cndmask_b32_e32 v4, v4, v8, vcc
	v_add_u32_e32 v8, 1, v4
	v_cmp_le_u32_e32 vcc, s20, v7
	v_cndmask_b32_e32 v7, v4, v8, vcc
	v_mov_b32_e32 v8, v3
.LBB0_6:                                ;   in Loop: Header=BB0_2 Depth=1
	s_or_b64 exec, exec, s[0:1]
	v_mul_lo_u32 v4, v8, s20
	v_mul_lo_u32 v11, v7, s21
	v_mad_u64_u32 v[9:10], s[0:1], v7, s20, 0
	s_load_dwordx2 s[0:1], s[6:7], 0x0
	s_add_u32 s18, s18, 1
	v_add3_u32 v4, v10, v11, v4
	v_sub_co_u32_e32 v5, vcc, v5, v9
	v_subb_co_u32_e32 v4, vcc, v6, v4, vcc
	s_waitcnt lgkmcnt(0)
	v_mul_lo_u32 v4, s0, v4
	v_mul_lo_u32 v6, s1, v5
	v_mad_u64_u32 v[1:2], s[0:1], s0, v5, v[1:2]
	s_addc_u32 s19, s19, 0
	s_add_u32 s6, s6, 8
	v_add3_u32 v2, v6, v2, v4
	v_mov_b32_e32 v4, s10
	v_mov_b32_e32 v5, s11
	s_addc_u32 s7, s7, 0
	v_cmp_ge_u64_e32 vcc, s[18:19], v[4:5]
	s_add_u32 s16, s16, 8
	s_addc_u32 s17, s17, 0
	s_cbranch_vccnz .LBB0_9
; %bb.7:                                ;   in Loop: Header=BB0_2 Depth=1
	v_mov_b32_e32 v5, v7
	v_mov_b32_e32 v6, v8
	s_branch .LBB0_2
.LBB0_8:
	v_mov_b32_e32 v8, v6
	v_mov_b32_e32 v7, v5
.LBB0_9:
	s_lshl_b64 s[0:1], s[10:11], 3
	s_add_u32 s0, s2, s0
	s_addc_u32 s1, s3, s1
	s_load_dwordx2 s[2:3], s[0:1], 0x0
	s_load_dwordx2 s[6:7], s[4:5], 0x20
                                        ; implicit-def: $vgpr76
                                        ; implicit-def: $vgpr74
                                        ; implicit-def: $vgpr75
                                        ; implicit-def: $vgpr78
                                        ; implicit-def: $vgpr79
                                        ; implicit-def: $vgpr80
                                        ; implicit-def: $vgpr81
	s_waitcnt lgkmcnt(0)
	v_mad_u64_u32 v[1:2], s[0:1], s2, v7, v[1:2]
	s_mov_b32 s0, 0x4104105
	v_mul_lo_u32 v3, s2, v8
	v_mul_lo_u32 v4, s3, v7
	v_mul_hi_u32 v5, v0, s0
	v_cmp_gt_u64_e32 vcc, s[6:7], v[7:8]
	v_cmp_le_u64_e64 s[0:1], s[6:7], v[7:8]
	v_add3_u32 v2, v4, v2, v3
	v_mul_u32_u24_e32 v3, 63, v5
	v_sub_u32_e32 v72, v0, v3
	v_add_u32_e32 v73, 63, v72
	s_and_saveexec_b64 s[2:3], s[0:1]
	s_xor_b64 s[0:1], exec, s[2:3]
; %bb.10:
	v_add_u32_e32 v76, 63, v72
	v_add_u32_e32 v74, 0x7e, v72
	;; [unrolled: 1-line block ×7, first 2 shown]
; %bb.11:
	s_or_saveexec_b64 s[2:3], s[0:1]
	v_lshlrev_b64 v[8:9], 3, v[1:2]
                                        ; implicit-def: $vgpr3
                                        ; implicit-def: $vgpr43
                                        ; implicit-def: $vgpr49
                                        ; implicit-def: $vgpr41
                                        ; implicit-def: $vgpr29
                                        ; implicit-def: $vgpr33
                                        ; implicit-def: $vgpr5
                                        ; implicit-def: $vgpr27
                                        ; implicit-def: $vgpr23
                                        ; implicit-def: $vgpr15
                                        ; implicit-def: $vgpr31
                                        ; implicit-def: $vgpr17
                                        ; implicit-def: $vgpr19
                                        ; implicit-def: $vgpr21
                                        ; implicit-def: $vgpr25
                                        ; implicit-def: $vgpr53
                                        ; implicit-def: $vgpr55
                                        ; implicit-def: $vgpr1
                                        ; implicit-def: $vgpr37
                                        ; implicit-def: $vgpr35
                                        ; implicit-def: $vgpr45
                                        ; implicit-def: $vgpr39
                                        ; implicit-def: $vgpr11
                                        ; implicit-def: $vgpr47
                                        ; implicit-def: $vgpr7
                                        ; implicit-def: $vgpr51
                                        ; implicit-def: $vgpr13
	s_xor_b64 exec, exec, s[2:3]
	s_cbranch_execz .LBB0_15
; %bb.12:
	v_mad_u64_u32 v[2:3], s[0:1], s12, v72, 0
	v_add_u32_e32 v7, 0x20d, v72
	v_mad_u64_u32 v[4:5], s[0:1], s12, v7, 0
	v_mov_b32_e32 v0, v3
	v_mad_u64_u32 v[0:1], s[0:1], s13, v72, v[0:1]
	v_mov_b32_e32 v6, s15
	v_add_co_u32_e64 v1, s[0:1], s14, v8
	v_mov_b32_e32 v3, v0
	v_mov_b32_e32 v0, v5
	v_addc_co_u32_e64 v53, s[0:1], v6, v9, s[0:1]
	v_mad_u64_u32 v[5:6], s[0:1], s13, v7, v[0:1]
	v_add_u32_e32 v10, 0x41a, v72
	v_mad_u64_u32 v[6:7], s[0:1], s12, v10, 0
	v_lshlrev_b64 v[2:3], 3, v[2:3]
	v_add_u32_e32 v74, 0x7e, v72
	v_add_co_u32_e64 v14, s[0:1], v1, v2
	v_mov_b32_e32 v0, v7
	v_addc_co_u32_e64 v15, s[0:1], v53, v3, s[0:1]
	v_lshlrev_b64 v[2:3], 3, v[4:5]
	v_mad_u64_u32 v[4:5], s[0:1], s13, v10, v[0:1]
	v_mad_u64_u32 v[10:11], s[0:1], s12, v73, 0
	v_add_co_u32_e64 v16, s[0:1], v1, v2
	v_mov_b32_e32 v7, v4
	v_mov_b32_e32 v0, v11
	v_addc_co_u32_e64 v17, s[0:1], v53, v3, s[0:1]
	v_lshlrev_b64 v[2:3], 3, v[6:7]
	v_mad_u64_u32 v[4:5], s[0:1], s13, v73, v[0:1]
	v_add_u32_e32 v7, 0x24c, v72
	v_mad_u64_u32 v[5:6], s[0:1], s12, v7, 0
	v_add_co_u32_e64 v18, s[0:1], v1, v2
	v_mov_b32_e32 v11, v4
	v_add_u32_e32 v4, 0x459, v72
	v_addc_co_u32_e64 v19, s[0:1], v53, v3, s[0:1]
	v_lshlrev_b64 v[2:3], 3, v[10:11]
	v_mov_b32_e32 v0, v6
	v_mad_u64_u32 v[10:11], s[0:1], s12, v4, 0
	v_mad_u64_u32 v[6:7], s[0:1], s13, v7, v[0:1]
	v_add_co_u32_e64 v20, s[0:1], v1, v2
	v_mov_b32_e32 v0, v11
	v_addc_co_u32_e64 v21, s[0:1], v53, v3, s[0:1]
	v_lshlrev_b64 v[2:3], 3, v[5:6]
	v_mad_u64_u32 v[4:5], s[0:1], s13, v4, v[0:1]
	v_mad_u64_u32 v[5:6], s[0:1], s12, v74, 0
	v_add_co_u32_e64 v24, s[0:1], v1, v2
	v_mov_b32_e32 v11, v4
	v_add_u32_e32 v4, 0x28b, v72
	v_addc_co_u32_e64 v25, s[0:1], v53, v3, s[0:1]
	v_lshlrev_b64 v[2:3], 3, v[10:11]
	v_mov_b32_e32 v0, v6
	v_mad_u64_u32 v[10:11], s[0:1], s12, v4, 0
	v_mad_u64_u32 v[6:7], s[0:1], s13, v74, v[0:1]
	v_add_co_u32_e64 v30, s[0:1], v1, v2
	v_mov_b32_e32 v0, v11
	v_addc_co_u32_e64 v31, s[0:1], v53, v3, s[0:1]
	v_lshlrev_b64 v[2:3], 3, v[5:6]
	v_mad_u64_u32 v[4:5], s[0:1], s13, v4, v[0:1]
	v_add_u32_e32 v7, 0x498, v72
	v_mad_u64_u32 v[5:6], s[0:1], s12, v7, 0
	v_add_co_u32_e64 v34, s[0:1], v1, v2
	v_mov_b32_e32 v11, v4
	v_add_u32_e32 v75, 0xbd, v72
	v_addc_co_u32_e64 v35, s[0:1], v53, v3, s[0:1]
	v_lshlrev_b64 v[2:3], 3, v[10:11]
	v_mov_b32_e32 v0, v6
	v_mad_u64_u32 v[10:11], s[0:1], s12, v75, 0
	v_mad_u64_u32 v[6:7], s[0:1], s13, v7, v[0:1]
	v_add_co_u32_e64 v36, s[0:1], v1, v2
	v_mov_b32_e32 v0, v11
	v_addc_co_u32_e64 v37, s[0:1], v53, v3, s[0:1]
	v_lshlrev_b64 v[2:3], 3, v[5:6]
	v_mad_u64_u32 v[4:5], s[0:1], s13, v75, v[0:1]
	v_add_u32_e32 v7, 0x2ca, v72
	;; [unrolled: 15-line block ×8, first 2 shown]
	v_mad_u64_u32 v[5:6], s[0:1], s12, v7, 0
	v_add_co_u32_e64 v84, s[0:1], v1, v2
	v_mov_b32_e32 v11, v4
	v_add_u32_e32 v4, 0x5d3, v72
	v_addc_co_u32_e64 v85, s[0:1], v53, v3, s[0:1]
	v_lshlrev_b64 v[2:3], 3, v[10:11]
	v_mov_b32_e32 v0, v6
	v_mad_u64_u32 v[10:11], s[0:1], s12, v4, 0
	v_mad_u64_u32 v[6:7], s[0:1], s13, v7, v[0:1]
	v_add_co_u32_e64 v86, s[0:1], v1, v2
	v_mov_b32_e32 v0, v11
	v_addc_co_u32_e64 v87, s[0:1], v53, v3, s[0:1]
	v_lshlrev_b64 v[2:3], 3, v[5:6]
	v_mad_u64_u32 v[4:5], s[0:1], s13, v4, v[0:1]
	v_add_co_u32_e64 v88, s[0:1], v1, v2
	v_mov_b32_e32 v11, v4
	v_addc_co_u32_e64 v89, s[0:1], v53, v3, s[0:1]
	v_lshlrev_b64 v[2:3], 3, v[10:11]
                                        ; implicit-def: $vgpr0
                                        ; implicit-def: $vgpr52
	v_add_co_u32_e64 v90, s[0:1], v1, v2
	v_addc_co_u32_e64 v91, s[0:1], v53, v3, s[0:1]
	global_load_dwordx2 v[2:3], v[14:15], off
	global_load_dwordx2 v[42:43], v[16:17], off
	;; [unrolled: 1-line block ×15, first 2 shown]
                                        ; kill: killed $vgpr60 killed $vgpr61
                                        ; kill: killed $vgpr30 killed $vgpr31
                                        ; kill: killed $vgpr16 killed $vgpr17
                                        ; kill: killed $vgpr64 killed $vgpr65
                                        ; kill: killed $vgpr56 killed $vgpr57
                                        ; kill: killed $vgpr34 killed $vgpr35
                                        ; kill: killed $vgpr44 killed $vgpr45
                                        ; kill: killed $vgpr24 killed $vgpr25
                                        ; kill: killed $vgpr14 killed $vgpr15
                                        ; kill: killed $vgpr62 killed $vgpr63
                                        ; kill: killed $vgpr54 killed $vgpr55
                                        ; kill: killed $vgpr18 killed $vgpr19
                                        ; kill: killed $vgpr58 killed $vgpr59
                                        ; kill: killed $vgpr36 killed $vgpr37
                                        ; kill: killed $vgpr20 killed $vgpr21
	global_load_dwordx2 v[14:15], v[66:67], off
	global_load_dwordx2 v[30:31], v[68:69], off
	global_load_dwordx2 v[44:45], v[70:71], off
	global_load_dwordx2 v[16:17], v[76:77], off
	global_load_dwordx2 v[34:35], v[82:83], off
	global_load_dwordx2 v[36:37], v[84:85], off
	global_load_dwordx2 v[18:19], v[86:87], off
	global_load_dwordx2 v[20:21], v[88:89], off
	global_load_dwordx2 v[24:25], v[90:91], off
	v_cmp_gt_u32_e64 s[0:1], 21, v72
                                        ; implicit-def: $vgpr54
	s_and_saveexec_b64 s[4:5], s[0:1]
	s_cbranch_execz .LBB0_14
; %bb.13:
	v_add_u32_e32 v52, 0x1f8, v72
	v_mad_u64_u32 v[54:55], s[0:1], s12, v52, 0
	v_add_u32_e32 v60, 0x405, v72
	v_mad_u64_u32 v[56:57], s[0:1], s12, v60, 0
	v_mov_b32_e32 v0, v55
	v_mad_u64_u32 v[58:59], s[0:1], s13, v52, v[0:1]
	v_mov_b32_e32 v0, v57
	v_add_u32_e32 v52, 0x612, v72
	v_mov_b32_e32 v55, v58
	v_mad_u64_u32 v[57:58], s[0:1], s13, v60, v[0:1]
	v_mad_u64_u32 v[58:59], s[0:1], s12, v52, 0
	v_lshlrev_b64 v[54:55], 3, v[54:55]
	v_add_co_u32_e64 v60, s[0:1], v1, v54
	v_mov_b32_e32 v0, v59
	v_addc_co_u32_e64 v61, s[0:1], v53, v55, s[0:1]
	v_lshlrev_b64 v[54:55], 3, v[56:57]
	v_mad_u64_u32 v[56:57], s[0:1], s13, v52, v[0:1]
	v_add_co_u32_e64 v62, s[0:1], v1, v54
	v_mov_b32_e32 v59, v56
	v_addc_co_u32_e64 v63, s[0:1], v53, v55, s[0:1]
	v_lshlrev_b64 v[54:55], 3, v[58:59]
	v_add_co_u32_e64 v56, s[0:1], v1, v54
	v_addc_co_u32_e64 v57, s[0:1], v53, v55, s[0:1]
	global_load_dwordx2 v[0:1], v[60:61], off
	global_load_dwordx2 v[52:53], v[62:63], off
	;; [unrolled: 1-line block ×3, first 2 shown]
.LBB0_14:
	s_or_b64 exec, exec, s[4:5]
	v_mov_b32_e32 v76, v73
.LBB0_15:
	s_or_b64 exec, exec, s[2:3]
	s_waitcnt vmcnt(21)
	v_add_f32_e32 v57, v42, v48
	v_add_f32_e32 v56, v2, v42
	v_fmac_f32_e32 v2, -0.5, v57
	v_sub_f32_e32 v57, v43, v49
	v_mov_b32_e32 v58, v2
	s_waitcnt vmcnt(18)
	v_add_f32_e32 v59, v50, v40
	v_fmac_f32_e32 v58, 0xbf5db3d7, v57
	v_fmac_f32_e32 v2, 0x3f5db3d7, v57
	v_add_f32_e32 v57, v12, v40
	v_fmac_f32_e32 v12, -0.5, v59
	v_sub_f32_e32 v59, v41, v51
	v_mov_b32_e32 v60, v12
	s_waitcnt vmcnt(15)
	v_add_f32_e32 v61, v28, v32
	v_fmac_f32_e32 v60, 0xbf5db3d7, v59
	v_fmac_f32_e32 v12, 0x3f5db3d7, v59
	;; [unrolled: 8-line block ×7, first 2 shown]
	v_add_f32_e32 v69, v18, v20
	v_fmac_f32_e32 v18, -0.5, v71
	v_sub_f32_e32 v71, v21, v25
	v_mov_b32_e32 v77, v18
	v_fmac_f32_e32 v77, 0xbf5db3d7, v71
	v_fmac_f32_e32 v18, 0x3f5db3d7, v71
	v_add_f32_e32 v71, v52, v0
	v_add_f32_e32 v82, v54, v71
	;; [unrolled: 1-line block ×5, first 2 shown]
	v_fmac_f32_e32 v0, -0.5, v71
	v_mad_u32_u24 v71, v72, 12, 0
	v_mad_i32_i24 v93, v76, 12, 0
	v_add_f32_e32 v59, v59, v32
	ds_write2_b32 v71, v56, v58 offset1:1
	v_sub_f32_e32 v56, v53, v55
	v_mov_b32_e32 v91, v0
	ds_write_b32 v71, v2 offset:8
	ds_write2_b32 v93, v57, v60 offset1:1
	ds_write_b32 v93, v12 offset:8
	v_mad_i32_i24 v12, v74, 12, 0
	v_add_f32_e32 v61, v61, v26
	v_add_f32_e32 v63, v63, v22
	v_fmac_f32_e32 v91, 0xbf5db3d7, v56
	v_fmac_f32_e32 v0, 0x3f5db3d7, v56
	v_mul_u32_u24_e32 v56, 12, v72
	ds_write2_b32 v12, v59, v62 offset1:1
	ds_write_b32 v12, v6 offset:8
	v_mad_i32_i24 v6, v75, 12, 0
	v_mad_i32_i24 v94, v78, 12, 0
	v_add_f32_e32 v65, v65, v44
	v_add_f32_e32 v67, v36, v67
	v_add_f32_e32 v69, v69, v24
	ds_write2_b32 v6, v61, v64 offset1:1
	ds_write_b32 v6, v4 offset:8
	ds_write2_b32 v94, v63, v66 offset1:1
	ds_write_b32 v94, v10 offset:8
	v_mad_i32_i24 v2, v79, 12, 0
	v_mad_i32_i24 v4, v80, 12, 0
	;; [unrolled: 1-line block ×3, first 2 shown]
	v_cmp_gt_u32_e64 s[0:1], 21, v72
	v_add_u32_e32 v10, 0, v56
	ds_write2_b32 v2, v65, v68 offset1:1
	ds_write_b32 v2, v14 offset:8
	ds_write2_b32 v4, v67, v70 offset1:1
	ds_write_b32 v4, v16 offset:8
	;; [unrolled: 2-line block ×3, first 2 shown]
	s_and_saveexec_b64 s[2:3], s[0:1]
	s_cbranch_execz .LBB0_17
; %bb.16:
	v_add_u32_e32 v14, 0x17a0, v10
	ds_write2_b32 v14, v82, v91 offset1:1
	ds_write_b32 v10, v0 offset:6056
.LBB0_17:
	s_or_b64 exec, exec, s[2:3]
	v_lshl_add_u32 v77, v72, 2, 0
	v_add_u32_e32 v18, 0x800, v77
	v_add_u32_e32 v56, 0x1000, v77
	s_waitcnt lgkmcnt(0)
	; wave barrier
	s_waitcnt lgkmcnt(0)
	ds_read2_b32 v[70:71], v18 offset0:13 offset1:76
	ds_read2_b32 v[68:69], v56 offset0:26 offset1:89
	v_lshlrev_b32_e32 v14, 3, v76
	v_lshlrev_b32_e32 v16, 3, v74
	ds_read2_b32 v[66:67], v18 offset0:139 offset1:202
	ds_read2_b32 v[64:65], v56 offset0:152 offset1:215
	v_lshlrev_b32_e32 v18, 3, v75
	v_lshlrev_b32_e32 v95, 3, v78
	v_sub_u32_e32 v83, v93, v14
	v_sub_u32_e32 v84, v12, v16
	;; [unrolled: 1-line block ×4, first 2 shown]
	v_add_u32_e32 v56, 0xc00, v77
	v_add_u32_e32 v57, 0x1400, v77
	v_lshlrev_b32_e32 v96, 3, v79
	v_lshlrev_b32_e32 v101, 3, v80
	;; [unrolled: 1-line block ×3, first 2 shown]
	ds_read2_b32 v[62:63], v56 offset0:9 offset1:72
	ds_read2_b32 v[60:61], v57 offset0:22 offset1:85
	v_sub_u32_e32 v97, v2, v96
	v_sub_u32_e32 v98, v4, v101
	ds_read2_b32 v[58:59], v56 offset0:135 offset1:198
	ds_read2_b32 v[56:57], v57 offset0:148 offset1:211
	v_sub_u32_e32 v99, v92, v102
	ds_read_b32 v90, v77
	ds_read_b32 v89, v83
	;; [unrolled: 1-line block ×8, first 2 shown]
	s_and_saveexec_b64 s[2:3], s[0:1]
	s_cbranch_execz .LBB0_19
; %bb.18:
	ds_read_b32 v82, v77 offset:2016
	ds_read_b32 v91, v77 offset:4116
	ds_read_b32 v0, v77 offset:6216
.LBB0_19:
	s_or_b64 exec, exec, s[2:3]
	v_sub_u32_e32 v99, 0, v18
	v_add_f32_e32 v18, v43, v49
	v_sub_u32_e32 v100, 0, v14
	v_sub_u32_e32 v14, 0, v16
	v_add_f32_e32 v16, v3, v43
	v_fmac_f32_e32 v3, -0.5, v18
	v_sub_f32_e32 v18, v42, v48
	v_mov_b32_e32 v42, v3
	v_fmac_f32_e32 v42, 0x3f5db3d7, v18
	v_fmac_f32_e32 v3, 0xbf5db3d7, v18
	v_add_f32_e32 v18, v13, v41
	v_add_f32_e32 v41, v51, v41
	v_fmac_f32_e32 v13, -0.5, v41
	v_sub_f32_e32 v40, v40, v50
	v_mov_b32_e32 v41, v13
	v_fmac_f32_e32 v41, 0x3f5db3d7, v40
	v_fmac_f32_e32 v13, 0xbf5db3d7, v40
	v_add_f32_e32 v40, v7, v29
	;; [unrolled: 7-line block ×3, first 2 shown]
	v_add_f32_e32 v32, v28, v27
	v_add_f32_e32 v27, v47, v27
	v_fmac_f32_e32 v5, -0.5, v27
	v_sub_f32_e32 v26, v46, v26
	v_mov_b32_e32 v27, v5
	v_fmac_f32_e32 v27, 0x3f5db3d7, v26
	v_fmac_f32_e32 v5, 0xbf5db3d7, v26
	v_add_f32_e32 v26, v39, v11
	v_add_f32_e32 v26, v26, v23
	v_add_f32_e32 v23, v39, v23
	v_fmac_f32_e32 v11, -0.5, v23
	v_sub_f32_e32 v22, v38, v22
	v_mov_b32_e32 v23, v11
	v_add_f32_e32 v28, v45, v31
	v_fmac_f32_e32 v23, 0x3f5db3d7, v22
	v_fmac_f32_e32 v11, 0xbf5db3d7, v22
	v_add_f32_e32 v22, v15, v31
	v_fmac_f32_e32 v15, -0.5, v28
	v_sub_f32_e32 v28, v30, v44
	v_mov_b32_e32 v30, v15
	v_fmac_f32_e32 v30, 0x3f5db3d7, v28
	v_fmac_f32_e32 v15, 0xbf5db3d7, v28
	v_add_f32_e32 v28, v35, v17
	v_add_f32_e32 v31, v37, v28
	;; [unrolled: 1-line block ×3, first 2 shown]
	v_fmac_f32_e32 v17, -0.5, v28
	v_add_f32_e32 v40, v40, v33
	v_sub_f32_e32 v28, v34, v36
	v_mov_b32_e32 v33, v17
	v_fmac_f32_e32 v33, 0x3f5db3d7, v28
	v_fmac_f32_e32 v17, 0xbf5db3d7, v28
	v_add_f32_e32 v28, v19, v21
	v_add_f32_e32 v21, v21, v25
	v_fmac_f32_e32 v19, -0.5, v21
	v_sub_f32_e32 v20, v20, v24
	v_mov_b32_e32 v21, v19
	v_fmac_f32_e32 v21, 0x3f5db3d7, v20
	v_fmac_f32_e32 v19, 0xbf5db3d7, v20
	v_add_f32_e32 v20, v53, v1
	v_add_f32_e32 v34, v28, v25
	;; [unrolled: 1-line block ×4, first 2 shown]
	v_fmac_f32_e32 v1, -0.5, v20
	v_sub_f32_e32 v20, v52, v54
	v_mov_b32_e32 v37, v1
	v_sub_u32_e32 v98, 0, v95
	v_sub_u32_e32 v97, 0, v96
	;; [unrolled: 1-line block ×4, first 2 shown]
	v_add_f32_e32 v16, v16, v49
	v_fmac_f32_e32 v37, 0x3f5db3d7, v20
	v_fmac_f32_e32 v1, 0xbf5db3d7, v20
	v_add_u32_e32 v50, 0x1f8, v72
	v_add_f32_e32 v18, v51, v18
	v_add_f32_e32 v22, v22, v45
	s_waitcnt lgkmcnt(0)
	; wave barrier
	s_waitcnt lgkmcnt(0)
	ds_write2_b32 v10, v16, v42 offset1:1
	ds_write_b32 v10, v3 offset:8
	ds_write2_b32 v93, v18, v41 offset1:1
	ds_write_b32 v93, v13 offset:8
	;; [unrolled: 2-line block ×8, first 2 shown]
	s_and_saveexec_b64 s[2:3], s[0:1]
	s_cbranch_execz .LBB0_21
; %bb.20:
	v_mad_u32_u24 v3, v50, 12, 0
	ds_write2_b32 v3, v28, v37 offset1:1
	ds_write_b32 v3, v1 offset:8
.LBB0_21:
	s_or_b64 exec, exec, s[2:3]
	v_add_u32_e32 v3, 0x800, v77
	v_add_u32_e32 v5, 0x1000, v77
	s_waitcnt lgkmcnt(0)
	; wave barrier
	s_waitcnt lgkmcnt(0)
	ds_read2_b32 v[18:19], v3 offset0:13 offset1:76
	ds_read2_b32 v[16:17], v5 offset0:26 offset1:89
	v_add_u32_e32 v52, v12, v14
	ds_read2_b32 v[14:15], v3 offset0:139 offset1:202
	ds_read2_b32 v[12:13], v5 offset0:152 offset1:215
	v_add_u32_e32 v3, 0xc00, v77
	v_add_u32_e32 v20, 0x1400, v77
	;; [unrolled: 1-line block ×5, first 2 shown]
	ds_read2_b32 v[10:11], v3 offset0:9 offset1:72
	ds_read2_b32 v[6:7], v20 offset0:22 offset1:85
	v_add_u32_e32 v55, v2, v97
	v_add_u32_e32 v21, v4, v96
	ds_read2_b32 v[4:5], v3 offset0:135 offset1:198
	ds_read2_b32 v[2:3], v20 offset0:148 offset1:211
	v_add_u32_e32 v20, v92, v95
	ds_read_b32 v36, v77
	ds_read_b32 v35, v51
	;; [unrolled: 1-line block ×8, first 2 shown]
	s_and_saveexec_b64 s[2:3], s[0:1]
	s_cbranch_execz .LBB0_23
; %bb.22:
	ds_read_b32 v28, v77 offset:2016
	ds_read_b32 v37, v77 offset:4116
	;; [unrolled: 1-line block ×3, first 2 shown]
.LBB0_23:
	s_or_b64 exec, exec, s[2:3]
	s_movk_i32 s2, 0xab
	v_mul_lo_u16_sdwa v20, v72, s2 dst_sel:DWORD dst_unused:UNUSED_PAD src0_sel:BYTE_0 src1_sel:DWORD
	v_lshrrev_b16_e32 v92, 9, v20
	v_mul_lo_u16_e32 v20, 3, v92
	v_sub_u16_e32 v93, v72, v20
	v_mov_b32_e32 v27, 4
	v_lshlrev_b32_sdwa v20, v27, v93 dst_sel:DWORD dst_unused:UNUSED_PAD src0_sel:DWORD src1_sel:BYTE_0
	global_load_dwordx4 v[21:24], v20, s[8:9]
	s_waitcnt vmcnt(0) lgkmcnt(14)
	v_mul_f32_e32 v20, v18, v22
	v_mul_f32_e32 v22, v70, v22
	v_fmac_f32_e32 v20, v70, v21
	v_fma_f32 v21, v18, v21, -v22
	v_mul_f32_e32 v22, v68, v24
	v_mul_f32_e32 v18, v16, v24
	v_fma_f32 v16, v16, v23, -v22
	v_mul_lo_u16_sdwa v22, v76, s2 dst_sel:DWORD dst_unused:UNUSED_PAD src0_sel:BYTE_0 src1_sel:DWORD
	v_fmac_f32_e32 v18, v68, v23
	v_lshrrev_b16_e32 v68, 9, v22
	v_mul_lo_u16_e32 v22, 3, v68
	v_sub_u16_e32 v70, v76, v22
	v_lshlrev_b32_sdwa v22, v27, v70 dst_sel:DWORD dst_unused:UNUSED_PAD src0_sel:DWORD src1_sel:BYTE_0
	global_load_dwordx4 v[23:26], v22, s[8:9]
	s_waitcnt vmcnt(0)
	v_mul_f32_e32 v22, v19, v24
	v_mul_f32_e32 v24, v71, v24
	v_fmac_f32_e32 v22, v71, v23
	v_fma_f32 v23, v19, v23, -v24
	v_mul_f32_e32 v24, v69, v26
	v_mul_f32_e32 v19, v17, v26
	v_fma_f32 v17, v17, v25, -v24
	v_mul_lo_u16_sdwa v24, v74, s2 dst_sel:DWORD dst_unused:UNUSED_PAD src0_sel:BYTE_0 src1_sel:DWORD
	v_fmac_f32_e32 v19, v69, v25
	v_lshrrev_b16_e32 v69, 9, v24
	v_mul_lo_u16_e32 v24, 3, v69
	v_sub_u16_e32 v71, v74, v24
	v_lshlrev_b32_sdwa v24, v27, v71 dst_sel:DWORD dst_unused:UNUSED_PAD src0_sel:DWORD src1_sel:BYTE_0
	global_load_dwordx4 v[38:41], v24, s[8:9]
	s_waitcnt vmcnt(0)
	v_mul_f32_e32 v25, v66, v39
	v_mul_f32_e32 v26, v64, v41
	s_waitcnt lgkmcnt(13)
	v_mul_f32_e32 v24, v14, v39
	v_fma_f32 v25, v14, v38, -v25
	s_waitcnt lgkmcnt(12)
	v_mul_f32_e32 v14, v12, v41
	v_fma_f32 v12, v12, v40, -v26
	v_mul_lo_u16_sdwa v26, v75, s2 dst_sel:DWORD dst_unused:UNUSED_PAD src0_sel:BYTE_0 src1_sel:DWORD
	v_fmac_f32_e32 v14, v64, v40
	v_lshrrev_b16_e32 v64, 9, v26
	v_mul_lo_u16_e32 v26, 3, v64
	v_fmac_f32_e32 v24, v66, v38
	v_sub_u16_e32 v66, v75, v26
	v_lshlrev_b32_sdwa v26, v27, v66 dst_sel:DWORD dst_unused:UNUSED_PAD src0_sel:DWORD src1_sel:BYTE_0
	global_load_dwordx4 v[38:41], v26, s[8:9]
	s_mov_b32 s2, 0xaaab
	s_waitcnt vmcnt(0)
	v_mul_f32_e32 v26, v15, v39
	v_mul_f32_e32 v27, v67, v39
	v_fmac_f32_e32 v26, v67, v38
	v_fma_f32 v27, v15, v38, -v27
	v_mul_f32_e32 v38, v65, v41
	v_mul_f32_e32 v15, v13, v41
	v_fma_f32 v13, v13, v40, -v38
	v_mul_u32_u24_sdwa v38, v78, s2 dst_sel:DWORD dst_unused:UNUSED_PAD src0_sel:WORD_0 src1_sel:DWORD
	v_fmac_f32_e32 v15, v65, v40
	v_lshrrev_b32_e32 v65, 17, v38
	v_mul_lo_u16_e32 v38, 3, v65
	v_sub_u16_e32 v67, v78, v38
	v_lshlrev_b32_e32 v38, 4, v67
	global_load_dwordx4 v[39:42], v38, s[8:9]
	s_waitcnt vmcnt(0) lgkmcnt(11)
	v_mul_f32_e32 v38, v10, v40
	v_mul_f32_e32 v40, v62, v40
	v_fmac_f32_e32 v38, v62, v39
	v_fma_f32 v39, v10, v39, -v40
	v_mul_f32_e32 v40, v60, v42
	s_waitcnt lgkmcnt(10)
	v_mul_f32_e32 v10, v6, v42
	v_fma_f32 v6, v6, v41, -v40
	v_mul_u32_u24_sdwa v40, v79, s2 dst_sel:DWORD dst_unused:UNUSED_PAD src0_sel:WORD_0 src1_sel:DWORD
	v_lshrrev_b32_e32 v62, 17, v40
	v_mul_lo_u16_e32 v40, 3, v62
	v_sub_u16_e32 v79, v79, v40
	v_lshlrev_b32_e32 v40, 4, v79
	v_fmac_f32_e32 v10, v60, v41
	global_load_dwordx4 v[41:44], v40, s[8:9]
	s_waitcnt vmcnt(0)
	v_mul_f32_e32 v40, v11, v42
	v_mul_f32_e32 v42, v63, v42
	v_fmac_f32_e32 v40, v63, v41
	v_fma_f32 v41, v11, v41, -v42
	v_mul_f32_e32 v42, v61, v44
	v_mul_f32_e32 v11, v7, v44
	v_fma_f32 v7, v7, v43, -v42
	v_mul_u32_u24_sdwa v42, v80, s2 dst_sel:DWORD dst_unused:UNUSED_PAD src0_sel:WORD_0 src1_sel:DWORD
	v_lshrrev_b32_e32 v63, 17, v42
	v_mul_lo_u16_e32 v42, 3, v63
	v_sub_u16_e32 v80, v80, v42
	v_lshlrev_b32_e32 v42, 4, v80
	v_fmac_f32_e32 v11, v61, v43
	global_load_dwordx4 v[43:46], v42, s[8:9]
	s_waitcnt vmcnt(0) lgkmcnt(9)
	v_mul_f32_e32 v42, v4, v44
	v_mul_f32_e32 v44, v58, v44
	v_fmac_f32_e32 v42, v58, v43
	v_fma_f32 v43, v4, v43, -v44
	v_mul_f32_e32 v44, v56, v46
	s_waitcnt lgkmcnt(8)
	v_mul_f32_e32 v4, v2, v46
	v_fma_f32 v2, v2, v45, -v44
	v_mul_u32_u24_sdwa v44, v81, s2 dst_sel:DWORD dst_unused:UNUSED_PAD src0_sel:WORD_0 src1_sel:DWORD
	v_lshrrev_b32_e32 v94, 17, v44
	v_mul_lo_u16_e32 v44, 3, v94
	v_sub_u16_e32 v81, v81, v44
	v_lshlrev_b32_e32 v44, 4, v81
	v_fmac_f32_e32 v4, v56, v45
	global_load_dwordx4 v[45:48], v44, s[8:9]
	s_waitcnt vmcnt(0)
	v_mul_f32_e32 v44, v5, v46
	v_mul_f32_e32 v46, v59, v46
	v_fmac_f32_e32 v44, v59, v45
	v_fma_f32 v45, v5, v45, -v46
	v_mul_f32_e32 v46, v57, v48
	v_mul_f32_e32 v5, v3, v48
	v_fma_f32 v46, v3, v47, -v46
	v_mul_u32_u24_sdwa v3, v50, s2 dst_sel:DWORD dst_unused:UNUSED_PAD src0_sel:WORD_0 src1_sel:DWORD
	v_lshrrev_b32_e32 v95, 17, v3
	v_mul_lo_u16_e32 v3, 3, v95
	v_sub_u16_e32 v96, v50, v3
	v_lshlrev_b32_e32 v3, 4, v96
	v_fmac_f32_e32 v5, v57, v47
	global_load_dwordx4 v[56:59], v3, s[8:9]
	s_waitcnt lgkmcnt(0)
	; wave barrier
	s_waitcnt vmcnt(0) lgkmcnt(0)
	v_mul_f32_e32 v49, v1, v59
	v_fmac_f32_e32 v49, v0, v58
	v_mul_f32_e32 v0, v0, v59
	v_fma_f32 v48, v1, v58, -v0
	v_add_f32_e32 v0, v90, v20
	v_add_f32_e32 v1, v0, v18
	;; [unrolled: 1-line block ×3, first 2 shown]
	v_fmac_f32_e32 v90, -0.5, v0
	v_mul_f32_e32 v47, v37, v57
	v_mul_f32_e32 v3, v91, v57
	v_sub_f32_e32 v0, v21, v16
	v_mov_b32_e32 v57, v90
	v_fmac_f32_e32 v57, 0xbf5db3d7, v0
	v_fmac_f32_e32 v90, 0x3f5db3d7, v0
	v_add_f32_e32 v0, v89, v22
	v_add_f32_e32 v59, v0, v19
	;; [unrolled: 1-line block ×3, first 2 shown]
	v_fmac_f32_e32 v89, -0.5, v0
	v_sub_f32_e32 v0, v23, v17
	v_mov_b32_e32 v60, v89
	v_fmac_f32_e32 v60, 0xbf5db3d7, v0
	v_fmac_f32_e32 v89, 0x3f5db3d7, v0
	v_add_f32_e32 v0, v88, v24
	v_add_f32_e32 v61, v0, v14
	v_add_f32_e32 v0, v24, v14
	v_fmac_f32_e32 v88, -0.5, v0
	v_fmac_f32_e32 v47, v91, v56
	v_sub_f32_e32 v0, v25, v12
	v_mov_b32_e32 v91, v88
	v_fmac_f32_e32 v91, 0xbf5db3d7, v0
	v_fmac_f32_e32 v88, 0x3f5db3d7, v0
	v_add_f32_e32 v0, v87, v26
	v_add_f32_e32 v97, v0, v15
	v_add_f32_e32 v0, v26, v15
	v_fmac_f32_e32 v87, -0.5, v0
	v_sub_f32_e32 v0, v27, v13
	v_mov_b32_e32 v98, v87
	v_fmac_f32_e32 v98, 0xbf5db3d7, v0
	v_fmac_f32_e32 v87, 0x3f5db3d7, v0
	v_add_f32_e32 v0, v86, v38
	v_add_f32_e32 v99, v0, v10
	v_add_f32_e32 v0, v38, v10
	v_fmac_f32_e32 v86, -0.5, v0
	v_sub_f32_e32 v0, v39, v6
	v_mov_b32_e32 v100, v86
	v_fmac_f32_e32 v100, 0xbf5db3d7, v0
	v_fmac_f32_e32 v86, 0x3f5db3d7, v0
	v_add_f32_e32 v0, v85, v40
	v_add_f32_e32 v101, v0, v11
	v_add_f32_e32 v0, v40, v11
	v_fmac_f32_e32 v85, -0.5, v0
	v_sub_f32_e32 v0, v41, v7
	v_mov_b32_e32 v102, v85
	v_fmac_f32_e32 v102, 0xbf5db3d7, v0
	v_fmac_f32_e32 v85, 0x3f5db3d7, v0
	v_add_f32_e32 v0, v84, v42
	v_add_f32_e32 v103, v0, v4
	v_add_f32_e32 v0, v42, v4
	v_fmac_f32_e32 v84, -0.5, v0
	v_sub_f32_e32 v0, v43, v2
	v_mov_b32_e32 v104, v84
	v_fmac_f32_e32 v104, 0xbf5db3d7, v0
	v_fmac_f32_e32 v84, 0x3f5db3d7, v0
	v_add_f32_e32 v0, v83, v44
	v_add_f32_e32 v105, v0, v5
	v_add_f32_e32 v0, v44, v5
	v_fmac_f32_e32 v83, -0.5, v0
	v_sub_f32_e32 v0, v45, v46
	v_mov_b32_e32 v106, v83
	v_fmac_f32_e32 v106, 0xbf5db3d7, v0
	v_fmac_f32_e32 v83, 0x3f5db3d7, v0
	v_add_f32_e32 v0, v47, v49
	v_fma_f32 v37, v37, v56, -v3
	v_fma_f32 v0, -0.5, v0, v82
	v_sub_f32_e32 v56, v37, v48
	v_mov_b32_e32 v3, v0
	v_fmac_f32_e32 v3, 0xbf5db3d7, v56
	v_fmac_f32_e32 v0, 0x3f5db3d7, v56
	v_mul_u32_u24_e32 v56, 36, v92
	v_mov_b32_e32 v92, 2
	v_lshlrev_b32_sdwa v58, v92, v93 dst_sel:DWORD dst_unused:UNUSED_PAD src0_sel:DWORD src1_sel:BYTE_0
	v_add3_u32 v56, 0, v56, v58
	ds_write2_b32 v56, v1, v57 offset1:3
	ds_write_b32 v56, v90 offset:24
	v_mul_u32_u24_e32 v1, 36, v68
	v_lshlrev_b32_sdwa v57, v92, v70 dst_sel:DWORD dst_unused:UNUSED_PAD src0_sel:DWORD src1_sel:BYTE_0
	v_add3_u32 v58, 0, v1, v57
	v_mul_u32_u24_e32 v1, 36, v69
	v_lshlrev_b32_sdwa v57, v92, v71 dst_sel:DWORD dst_unused:UNUSED_PAD src0_sel:DWORD src1_sel:BYTE_0
	ds_write2_b32 v58, v59, v60 offset1:3
	ds_write_b32 v58, v89 offset:24
	v_add3_u32 v59, 0, v1, v57
	v_mul_u32_u24_e32 v1, 36, v64
	v_lshlrev_b32_sdwa v57, v92, v66 dst_sel:DWORD dst_unused:UNUSED_PAD src0_sel:DWORD src1_sel:BYTE_0
	v_add3_u32 v60, 0, v1, v57
	v_mul_u32_u24_e32 v1, 36, v65
	v_lshlrev_b32_e32 v57, 2, v67
	ds_write2_b32 v59, v61, v91 offset1:3
	ds_write_b32 v59, v88 offset:24
	v_add3_u32 v61, 0, v1, v57
	v_mul_u32_u24_e32 v1, 36, v62
	v_lshlrev_b32_e32 v57, 2, v79
	v_add3_u32 v62, 0, v1, v57
	v_mul_u32_u24_e32 v1, 36, v63
	v_lshlrev_b32_e32 v57, 2, v80
	v_add3_u32 v65, 0, v1, v57
	v_mul_u32_u24_e32 v1, 36, v94
	v_lshlrev_b32_e32 v57, 2, v81
	v_add3_u32 v66, 0, v1, v57
	v_mul_lo_u16_e32 v63, 9, v95
	v_lshlrev_b32_e32 v64, 2, v96
	ds_write2_b32 v60, v97, v98 offset1:3
	ds_write_b32 v60, v87 offset:24
	ds_write2_b32 v61, v99, v100 offset1:3
	ds_write_b32 v61, v86 offset:24
	;; [unrolled: 2-line block ×5, first 2 shown]
	s_and_saveexec_b64 s[2:3], s[0:1]
	s_cbranch_execz .LBB0_25
; %bb.24:
	v_add_f32_e32 v1, v82, v47
	v_lshlrev_b32_e32 v57, 2, v63
	v_add_f32_e32 v1, v1, v49
	v_add3_u32 v57, 0, v64, v57
	ds_write2_b32 v57, v1, v3 offset1:3
	ds_write_b32 v57, v0 offset:24
.LBB0_25:
	s_or_b64 exec, exec, s[2:3]
	v_add_f32_e32 v1, v36, v21
	v_add_f32_e32 v67, v1, v16
	v_add_f32_e32 v1, v21, v16
	v_fmac_f32_e32 v36, -0.5, v1
	v_sub_f32_e32 v1, v20, v18
	v_mov_b32_e32 v68, v36
	v_fmac_f32_e32 v68, 0x3f5db3d7, v1
	v_fmac_f32_e32 v36, 0xbf5db3d7, v1
	v_add_f32_e32 v1, v35, v23
	v_add_f32_e32 v69, v1, v17
	v_add_f32_e32 v1, v23, v17
	v_fmac_f32_e32 v35, -0.5, v1
	v_sub_f32_e32 v1, v22, v19
	v_mov_b32_e32 v70, v35
	v_fmac_f32_e32 v70, 0x3f5db3d7, v1
	v_fmac_f32_e32 v35, 0xbf5db3d7, v1
	;; [unrolled: 8-line block ×8, first 2 shown]
	v_add_f32_e32 v1, v37, v48
	v_fma_f32 v4, -0.5, v1, v28
	v_sub_f32_e32 v1, v47, v49
	v_mov_b32_e32 v7, v4
	v_add_u32_e32 v12, 0x800, v77
	v_add_u32_e32 v38, 0xc00, v77
	;; [unrolled: 1-line block ×9, first 2 shown]
	v_fmac_f32_e32 v7, 0x3f5db3d7, v1
	v_fmac_f32_e32 v4, 0xbf5db3d7, v1
	s_waitcnt lgkmcnt(0)
	; wave barrier
	s_waitcnt lgkmcnt(0)
	ds_read_b32 v44, v77
	ds_read2_b32 v[26:27], v12 offset0:118 offset1:181
	ds_read2_b32 v[1:2], v38 offset0:114 offset1:177
	;; [unrolled: 1-line block ×7, first 2 shown]
	ds_read_b32 v46, v52
	ds_read_b32 v45, v53
	ds_read2_b32 v[14:15], v43 offset0:120 offset1:183
	ds_read2_b32 v[5:6], v42 offset0:110 offset1:173
	ds_read_b32 v49, v55
	ds_read_b32 v11, v54
	;; [unrolled: 1-line block ×3, first 2 shown]
	ds_read_b32 v10, v77 offset:6048
	s_waitcnt lgkmcnt(0)
	; wave barrier
	s_waitcnt lgkmcnt(0)
	ds_write2_b32 v56, v67, v68 offset1:3
	ds_write_b32 v56, v36 offset:24
	ds_write2_b32 v58, v69, v70 offset1:3
	ds_write_b32 v58, v35 offset:24
	;; [unrolled: 2-line block ×8, first 2 shown]
	s_and_saveexec_b64 s[2:3], s[0:1]
	s_cbranch_execz .LBB0_27
; %bb.26:
	v_add_f32_e32 v28, v28, v37
	v_lshlrev_b32_e32 v29, 2, v63
	v_add_f32_e32 v28, v28, v48
	v_add3_u32 v29, 0, v64, v29
	ds_write2_b32 v29, v28, v7 offset1:3
	ds_write_b32 v29, v4 offset:24
.LBB0_27:
	s_or_b64 exec, exec, s[2:3]
	v_mov_b32_e32 v32, 57
	v_mul_lo_u16_sdwa v28, v72, v32 dst_sel:DWORD dst_unused:UNUSED_PAD src0_sel:BYTE_0 src1_sel:DWORD
	v_lshrrev_b16_e32 v136, 9, v28
	v_mul_lo_u16_e32 v28, 9, v136
	v_sub_u16_e32 v48, v72, v28
	v_mov_b32_e32 v33, 5
	v_lshlrev_b32_sdwa v34, v33, v48 dst_sel:DWORD dst_unused:UNUSED_PAD src0_sel:DWORD src1_sel:BYTE_0
	s_waitcnt lgkmcnt(0)
	; wave barrier
	s_waitcnt lgkmcnt(0)
	global_load_dwordx4 v[28:31], v34, s[8:9] offset:48
	global_load_dwordx4 v[58:61], v34, s[8:9] offset:64
	v_mul_lo_u16_sdwa v34, v76, v32 dst_sel:DWORD dst_unused:UNUSED_PAD src0_sel:BYTE_0 src1_sel:DWORD
	v_lshrrev_b16_e32 v137, 9, v34
	v_mul_lo_u16_e32 v34, 9, v137
	v_sub_u16_e32 v81, v76, v34
	v_lshlrev_b32_sdwa v34, v33, v81 dst_sel:DWORD dst_unused:UNUSED_PAD src0_sel:DWORD src1_sel:BYTE_0
	global_load_dwordx4 v[62:65], v34, s[8:9] offset:48
	global_load_dwordx4 v[66:69], v34, s[8:9] offset:64
	v_mul_lo_u16_sdwa v34, v74, v32 dst_sel:DWORD dst_unused:UNUSED_PAD src0_sel:BYTE_0 src1_sel:DWORD
	v_lshrrev_b16_e32 v138, 9, v34
	v_mul_lo_u16_sdwa v32, v75, v32 dst_sel:DWORD dst_unused:UNUSED_PAD src0_sel:BYTE_0 src1_sel:DWORD
	v_mul_lo_u16_e32 v34, 9, v138
	v_lshrrev_b16_e32 v139, 9, v32
	v_sub_u16_e32 v82, v74, v34
	v_mul_lo_u16_e32 v32, 9, v139
	v_lshlrev_b32_sdwa v34, v33, v82 dst_sel:DWORD dst_unused:UNUSED_PAD src0_sel:DWORD src1_sel:BYTE_0
	v_sub_u16_e32 v140, v75, v32
	global_load_dwordx4 v[102:105], v34, s[8:9] offset:48
	global_load_dwordx4 v[106:109], v34, s[8:9] offset:64
	v_lshlrev_b32_sdwa v35, v33, v140 dst_sel:DWORD dst_unused:UNUSED_PAD src0_sel:DWORD src1_sel:BYTE_0
	s_mov_b32 s0, 0xe38f
	global_load_dwordx4 v[110:113], v35, s[8:9] offset:48
	ds_read_b32 v34, v77
	ds_read2_b32 v[32:33], v12 offset0:118 offset1:181
	ds_read2_b32 v[126:127], v38 offset0:114 offset1:177
	;; [unrolled: 1-line block ×5, first 2 shown]
	v_mul_u32_u24_sdwa v13, v78, s0 dst_sel:DWORD dst_unused:UNUSED_PAD src0_sel:WORD_0 src1_sel:DWORD
	v_lshrrev_b32_e32 v141, 19, v13
	v_mul_lo_u16_e32 v13, 9, v141
	global_load_dwordx4 v[114:117], v35, s[8:9] offset:64
	v_sub_u16_e32 v142, v78, v13
	v_lshlrev_b32_e32 v13, 5, v142
	ds_read2_b32 v[128:129], v40 offset0:116 offset1:179
	global_load_dwordx4 v[118:121], v13, s[8:9] offset:64
	global_load_dwordx4 v[122:125], v13, s[8:9] offset:48
	ds_read2_b32 v[130:131], v41 offset0:106 offset1:169
	ds_read_b32 v35, v53
	ds_read2_b32 v[132:133], v43 offset0:120 offset1:183
	ds_read2_b32 v[134:135], v42 offset0:110 offset1:173
	ds_read_b32 v83, v55
	ds_read_b32 v13, v54
	;; [unrolled: 1-line block ×4, first 2 shown]
	ds_read_b32 v143, v77 offset:6048
	s_waitcnt lgkmcnt(0)
	; wave barrier
	s_waitcnt lgkmcnt(0)
	v_cmp_gt_u32_e64 s[0:1], 36, v72
	s_waitcnt vmcnt(9)
	v_mul_f32_e32 v98, v83, v29
	v_mul_f32_e32 v29, v49, v29
	v_fmac_f32_e32 v98, v49, v28
	v_fma_f32 v92, v83, v28, -v29
	v_mul_f32_e32 v28, v26, v31
	v_mul_f32_e32 v99, v32, v31
	s_waitcnt vmcnt(7)
	v_mul_f32_e32 v90, v33, v65
	v_fmac_f32_e32 v90, v27, v64
	v_mul_f32_e32 v27, v27, v65
	s_waitcnt vmcnt(6)
	v_mul_f32_e32 v93, v56, v67
	v_fma_f32 v94, v32, v30, -v28
	v_mul_f32_e32 v100, v127, v59
	v_mul_f32_e32 v28, v24, v61
	v_fma_f32 v85, v33, v64, -v27
	v_mul_f32_e32 v27, v20, v67
	v_fmac_f32_e32 v93, v20, v66
	s_waitcnt vmcnt(5)
	v_mul_f32_e32 v83, v128, v105
	v_mul_f32_e32 v20, v25, v69
	v_fmac_f32_e32 v83, v18, v104
	v_mul_f32_e32 v18, v18, v105
	v_fmac_f32_e32 v99, v26, v30
	v_mul_f32_e32 v26, v2, v59
	v_mul_f32_e32 v101, v70, v61
	v_fmac_f32_e32 v100, v2, v58
	v_fma_f32 v97, v70, v60, -v28
	v_mov_b32_e32 v2, 2
	v_mul_f32_e32 v28, v22, v63
	v_mul_f32_e32 v95, v71, v69
	v_fma_f32 v89, v71, v68, -v20
	v_fma_f32 v71, v128, v104, -v18
	s_waitcnt vmcnt(4)
	v_mul_f32_e32 v18, v21, v107
	v_fma_f32 v96, v127, v58, -v26
	v_fmac_f32_e32 v101, v24, v60
	v_lshlrev_b32_sdwa v24, v2, v48 dst_sel:DWORD dst_unused:UNUSED_PAD src0_sel:DWORD src1_sel:BYTE_0
	v_lshlrev_b32_sdwa v26, v2, v81 dst_sel:DWORD dst_unused:UNUSED_PAD src0_sel:DWORD src1_sel:BYTE_0
	v_mul_f32_e32 v91, v79, v63
	v_fma_f32 v86, v79, v62, -v28
	v_lshlrev_b32_sdwa v20, v2, v82 dst_sel:DWORD dst_unused:UNUSED_PAD src0_sel:DWORD src1_sel:BYTE_0
	v_fma_f32 v79, v57, v106, -v18
	v_lshlrev_b32_sdwa v18, v2, v140 dst_sel:DWORD dst_unused:UNUSED_PAD src0_sel:DWORD src1_sel:BYTE_0
	s_waitcnt vmcnt(3)
	v_mul_f32_e32 v2, v14, v111
	v_mul_f32_e32 v84, v57, v107
	v_fma_f32 v57, v132, v110, -v2
	v_mul_f32_e32 v2, v19, v113
	v_fma_f32 v61, v129, v112, -v2
	s_waitcnt vmcnt(2)
	v_mul_f32_e32 v2, v5, v115
	v_fma_f32 v64, v134, v114, -v2
	v_mul_f32_e32 v2, v17, v117
	v_mul_f32_e32 v88, v130, v109
	;; [unrolled: 1-line block ×3, first 2 shown]
	v_fma_f32 v65, v131, v116, -v2
	s_waitcnt vmcnt(0)
	v_mul_f32_e32 v2, v15, v123
	v_mul_f32_e32 v60, v126, v125
	v_fmac_f32_e32 v91, v22, v62
	v_fmac_f32_e32 v88, v16, v108
	v_mul_f32_e32 v16, v16, v109
	v_fmac_f32_e32 v70, v5, v114
	v_fma_f32 v5, v133, v122, -v2
	v_fmac_f32_e32 v60, v1, v124
	v_mul_f32_e32 v1, v1, v125
	v_mul_f32_e32 v62, v135, v119
	v_add_f32_e32 v2, v99, v100
	v_mul_f32_e32 v22, v23, v103
	v_fma_f32 v81, v130, v108, -v16
	v_mul_f32_e32 v49, v133, v123
	v_fma_f32 v16, v126, v124, -v1
	v_fmac_f32_e32 v62, v6, v118
	v_mul_f32_e32 v1, v6, v119
	v_fma_f32 v6, -0.5, v2, v44
	v_fma_f32 v87, v56, v66, -v27
	v_fmac_f32_e32 v95, v25, v68
	v_mul_f32_e32 v82, v80, v103
	v_fma_f32 v69, v80, v102, -v22
	v_mul_f32_e32 v68, v129, v113
	v_mul_f32_e32 v80, v131, v117
	v_fmac_f32_e32 v49, v15, v122
	v_mul_f32_e32 v66, v143, v121
	v_sub_f32_e32 v2, v92, v97
	v_mov_b32_e32 v15, v6
	v_fmac_f32_e32 v84, v21, v106
	v_fmac_f32_e32 v68, v19, v112
	;; [unrolled: 1-line block ×3, first 2 shown]
	v_fma_f32 v17, v135, v118, -v1
	v_fmac_f32_e32 v66, v10, v120
	v_mul_f32_e32 v1, v10, v121
	v_fmac_f32_e32 v15, 0xbf737871, v2
	v_sub_f32_e32 v10, v94, v96
	v_sub_f32_e32 v19, v98, v99
	;; [unrolled: 1-line block ×3, first 2 shown]
	v_fmac_f32_e32 v6, 0x3f737871, v2
	v_fmac_f32_e32 v15, 0xbf167918, v10
	v_add_f32_e32 v19, v19, v21
	v_fmac_f32_e32 v6, 0x3f167918, v10
	v_fmac_f32_e32 v15, 0x3e9e377a, v19
	;; [unrolled: 1-line block ×3, first 2 shown]
	v_add_f32_e32 v19, v98, v101
	v_fma_f32 v48, v143, v120, -v1
	v_add_f32_e32 v1, v44, v98
	v_fmac_f32_e32 v44, -0.5, v19
	v_mov_b32_e32 v19, v44
	v_fmac_f32_e32 v19, 0x3f737871, v10
	v_fmac_f32_e32 v44, 0xbf737871, v10
	v_fmac_f32_e32 v19, 0xbf167918, v2
	v_fmac_f32_e32 v44, 0x3f167918, v2
	v_add_f32_e32 v2, v47, v91
	v_sub_f32_e32 v21, v99, v98
	v_sub_f32_e32 v22, v100, v101
	v_add_f32_e32 v2, v2, v90
	v_add_f32_e32 v21, v21, v22
	;; [unrolled: 1-line block ×3, first 2 shown]
	v_fmac_f32_e32 v19, 0x3e9e377a, v21
	v_fmac_f32_e32 v44, 0x3e9e377a, v21
	v_add_f32_e32 v21, v2, v95
	v_add_f32_e32 v2, v90, v93
	v_fma_f32 v22, -0.5, v2, v47
	v_fmac_f32_e32 v82, v23, v102
	v_sub_f32_e32 v2, v86, v89
	v_mov_b32_e32 v23, v22
	v_fmac_f32_e32 v23, 0xbf737871, v2
	v_sub_f32_e32 v10, v85, v87
	v_sub_f32_e32 v25, v91, v90
	;; [unrolled: 1-line block ×3, first 2 shown]
	v_fmac_f32_e32 v22, 0x3f737871, v2
	v_fmac_f32_e32 v23, 0xbf167918, v10
	v_add_f32_e32 v25, v25, v27
	v_fmac_f32_e32 v22, 0x3f167918, v10
	v_fmac_f32_e32 v23, 0x3e9e377a, v25
	;; [unrolled: 1-line block ×3, first 2 shown]
	v_add_f32_e32 v25, v91, v95
	v_fmac_f32_e32 v47, -0.5, v25
	v_mov_b32_e32 v25, v47
	v_fmac_f32_e32 v25, 0x3f737871, v10
	v_fmac_f32_e32 v47, 0xbf737871, v10
	v_fmac_f32_e32 v25, 0xbf167918, v2
	v_fmac_f32_e32 v47, 0x3f167918, v2
	v_add_f32_e32 v2, v46, v82
	v_sub_f32_e32 v27, v90, v91
	v_sub_f32_e32 v28, v93, v95
	v_add_f32_e32 v2, v2, v83
	v_add_f32_e32 v27, v27, v28
	;; [unrolled: 1-line block ×3, first 2 shown]
	v_fmac_f32_e32 v25, 0x3e9e377a, v27
	v_fmac_f32_e32 v47, 0x3e9e377a, v27
	v_add_f32_e32 v27, v2, v88
	v_add_f32_e32 v2, v83, v84
	v_fma_f32 v28, -0.5, v2, v46
	v_sub_f32_e32 v2, v69, v81
	v_mov_b32_e32 v29, v28
	v_fmac_f32_e32 v29, 0xbf737871, v2
	v_sub_f32_e32 v10, v71, v79
	v_sub_f32_e32 v30, v82, v83
	;; [unrolled: 1-line block ×3, first 2 shown]
	v_fmac_f32_e32 v28, 0x3f737871, v2
	v_fmac_f32_e32 v29, 0xbf167918, v10
	v_add_f32_e32 v30, v30, v31
	v_fmac_f32_e32 v28, 0x3f167918, v10
	v_fmac_f32_e32 v29, 0x3e9e377a, v30
	;; [unrolled: 1-line block ×3, first 2 shown]
	v_add_f32_e32 v30, v82, v88
	v_fmac_f32_e32 v46, -0.5, v30
	v_mul_f32_e32 v67, v132, v111
	v_mov_b32_e32 v30, v46
	v_fmac_f32_e32 v67, v14, v110
	v_fmac_f32_e32 v30, 0x3f737871, v10
	;; [unrolled: 1-line block ×5, first 2 shown]
	v_add_f32_e32 v2, v45, v67
	v_sub_f32_e32 v31, v83, v82
	v_sub_f32_e32 v32, v84, v88
	v_add_f32_e32 v2, v2, v68
	v_add_f32_e32 v31, v31, v32
	v_add_f32_e32 v2, v2, v70
	v_fmac_f32_e32 v30, 0x3e9e377a, v31
	v_fmac_f32_e32 v46, 0x3e9e377a, v31
	v_add_f32_e32 v31, v2, v80
	v_add_f32_e32 v2, v68, v70
	v_fma_f32 v32, -0.5, v2, v45
	v_sub_f32_e32 v2, v57, v65
	v_mov_b32_e32 v33, v32
	v_fmac_f32_e32 v33, 0xbf737871, v2
	v_sub_f32_e32 v10, v61, v64
	v_sub_f32_e32 v56, v67, v68
	;; [unrolled: 1-line block ×3, first 2 shown]
	v_fmac_f32_e32 v32, 0x3f737871, v2
	v_fmac_f32_e32 v33, 0xbf167918, v10
	v_add_f32_e32 v56, v56, v58
	v_fmac_f32_e32 v32, 0x3f167918, v10
	v_fmac_f32_e32 v33, 0x3e9e377a, v56
	;; [unrolled: 1-line block ×3, first 2 shown]
	v_add_f32_e32 v56, v67, v80
	v_fmac_f32_e32 v45, -0.5, v56
	v_mov_b32_e32 v58, v45
	v_fmac_f32_e32 v58, 0x3f737871, v10
	v_fmac_f32_e32 v45, 0xbf737871, v10
	;; [unrolled: 1-line block ×4, first 2 shown]
	v_add_f32_e32 v2, v11, v49
	v_add_f32_e32 v2, v2, v60
	v_sub_f32_e32 v56, v68, v67
	v_sub_f32_e32 v59, v70, v80
	v_add_f32_e32 v2, v2, v62
	v_add_f32_e32 v56, v56, v59
	;; [unrolled: 1-line block ×4, first 2 shown]
	v_fma_f32 v2, -0.5, v2, v11
	v_fmac_f32_e32 v58, 0x3e9e377a, v56
	v_fmac_f32_e32 v45, 0x3e9e377a, v56
	v_sub_f32_e32 v63, v5, v48
	v_mov_b32_e32 v56, v2
	v_fmac_f32_e32 v56, 0xbf737871, v63
	v_sub_f32_e32 v102, v16, v17
	v_sub_f32_e32 v10, v49, v60
	;; [unrolled: 1-line block ×3, first 2 shown]
	v_fmac_f32_e32 v2, 0x3f737871, v63
	v_fmac_f32_e32 v56, 0xbf167918, v102
	v_add_f32_e32 v10, v10, v103
	v_fmac_f32_e32 v2, 0x3f167918, v102
	v_fmac_f32_e32 v56, 0x3e9e377a, v10
	;; [unrolled: 1-line block ×3, first 2 shown]
	v_add_f32_e32 v10, v49, v66
	v_fmac_f32_e32 v11, -0.5, v10
	v_mov_b32_e32 v10, v11
	v_add_f32_e32 v1, v1, v99
	v_fmac_f32_e32 v10, 0x3f737871, v102
	v_fmac_f32_e32 v11, 0xbf737871, v102
	v_add_f32_e32 v1, v1, v100
	v_fmac_f32_e32 v10, 0xbf167918, v63
	v_fmac_f32_e32 v11, 0x3f167918, v63
	v_mul_u32_u24_e32 v63, 0xb4, v136
	v_add_f32_e32 v1, v1, v101
	v_add3_u32 v102, 0, v63, v24
	ds_write2_b32 v102, v1, v15 offset1:9
	ds_write2_b32 v102, v19, v44 offset0:18 offset1:27
	ds_write_b32 v102, v6 offset:144
	v_mul_u32_u24_e32 v1, 0xb4, v137
	v_add3_u32 v44, 0, v1, v26
	v_mul_u32_u24_e32 v1, 0xb4, v138
	ds_write2_b32 v44, v21, v23 offset1:9
	ds_write2_b32 v44, v25, v47 offset0:18 offset1:27
	ds_write_b32 v44, v22 offset:144
	v_add3_u32 v47, 0, v1, v20
	v_mul_u32_u24_e32 v1, 0xb4, v139
	v_lshlrev_b32_e32 v14, 2, v142
	v_sub_f32_e32 v103, v60, v49
	v_sub_f32_e32 v104, v62, v66
	ds_write2_b32 v47, v27, v29 offset1:9
	ds_write2_b32 v47, v30, v46 offset0:18 offset1:27
	ds_write_b32 v47, v28 offset:144
	v_add3_u32 v46, 0, v1, v18
	v_mul_u32_u24_e32 v1, 0xb4, v141
	v_add_f32_e32 v103, v103, v104
	ds_write2_b32 v46, v31, v33 offset1:9
	ds_write2_b32 v46, v58, v45 offset0:18 offset1:27
	ds_write_b32 v46, v32 offset:144
	v_add3_u32 v45, 0, v1, v14
	v_fmac_f32_e32 v10, 0x3e9e377a, v103
	v_fmac_f32_e32 v11, 0x3e9e377a, v103
	ds_write2_b32 v45, v59, v56 offset1:9
	ds_write2_b32 v45, v10, v11 offset0:18 offset1:27
	ds_write_b32 v45, v2 offset:144
	s_waitcnt lgkmcnt(0)
	; wave barrier
	s_waitcnt lgkmcnt(0)
	ds_read2_b32 v[14:15], v77 offset1:225
	ds_read2_b32 v[32:33], v43 offset0:66 offset1:129
	ds_read2_b32 v[22:23], v12 offset0:64 offset1:163
	;; [unrolled: 1-line block ×8, first 2 shown]
	ds_read_b32 v58, v52
	ds_read_b32 v59, v51
	ds_read_b32 v63, v77 offset:5904
	s_and_saveexec_b64 s[2:3], s[0:1]
	s_cbranch_execz .LBB0_29
; %bb.28:
	v_add_u32_e32 v0, 0x600, v77
	ds_read2_b32 v[10:11], v0 offset0:30 offset1:255
	v_add_u32_e32 v0, 0xd80, v77
	ds_read2_b32 v[2:3], v0 offset1:225
	v_add_u32_e32 v0, 0x1480, v77
	ds_read_b32 v56, v53
	ds_read2_b32 v[0:1], v0 offset0:2 offset1:227
.LBB0_29:
	s_or_b64 exec, exec, s[2:3]
	v_add_f32_e32 v6, v34, v92
	v_add_f32_e32 v6, v6, v94
	;; [unrolled: 1-line block ×5, first 2 shown]
	v_fma_f32 v39, -0.5, v6, v34
	v_sub_f32_e32 v6, v98, v101
	v_mov_b32_e32 v40, v39
	v_fmac_f32_e32 v40, 0x3f737871, v6
	v_sub_f32_e32 v12, v99, v100
	v_sub_f32_e32 v41, v92, v94
	v_sub_f32_e32 v42, v97, v96
	v_fmac_f32_e32 v39, 0xbf737871, v6
	v_fmac_f32_e32 v40, 0x3f167918, v12
	v_add_f32_e32 v41, v41, v42
	v_fmac_f32_e32 v39, 0xbf167918, v12
	v_fmac_f32_e32 v40, 0x3e9e377a, v41
	v_fmac_f32_e32 v39, 0x3e9e377a, v41
	v_add_f32_e32 v41, v92, v97
	v_fmac_f32_e32 v34, -0.5, v41
	v_mov_b32_e32 v41, v34
	v_fmac_f32_e32 v41, 0xbf737871, v12
	v_fmac_f32_e32 v34, 0x3f737871, v12
	v_fmac_f32_e32 v41, 0x3f167918, v6
	v_fmac_f32_e32 v34, 0xbf167918, v6
	v_add_f32_e32 v6, v37, v86
	v_sub_f32_e32 v42, v94, v92
	v_sub_f32_e32 v43, v96, v97
	v_add_f32_e32 v6, v6, v85
	v_add_f32_e32 v42, v42, v43
	v_add_f32_e32 v6, v6, v87
	v_fmac_f32_e32 v41, 0x3e9e377a, v42
	v_fmac_f32_e32 v34, 0x3e9e377a, v42
	v_add_f32_e32 v42, v6, v89
	v_add_f32_e32 v6, v85, v87
	v_fma_f32 v43, -0.5, v6, v37
	v_sub_f32_e32 v6, v91, v95
	v_mov_b32_e32 v91, v43
	v_fmac_f32_e32 v91, 0x3f737871, v6
	v_sub_f32_e32 v12, v90, v93
	v_sub_f32_e32 v90, v86, v85
	v_sub_f32_e32 v92, v89, v87
	v_fmac_f32_e32 v43, 0xbf737871, v6
	v_fmac_f32_e32 v91, 0x3f167918, v12
	v_add_f32_e32 v90, v90, v92
	v_fmac_f32_e32 v43, 0xbf167918, v12
	v_fmac_f32_e32 v91, 0x3e9e377a, v90
	v_fmac_f32_e32 v43, 0x3e9e377a, v90
	v_add_f32_e32 v90, v86, v89
	v_fmac_f32_e32 v37, -0.5, v90
	v_mov_b32_e32 v90, v37
	v_fmac_f32_e32 v90, 0xbf737871, v12
	v_fmac_f32_e32 v37, 0x3f737871, v12
	v_fmac_f32_e32 v90, 0x3f167918, v6
	v_fmac_f32_e32 v37, 0xbf167918, v6
	v_add_f32_e32 v6, v36, v69
	v_sub_f32_e32 v85, v85, v86
	v_sub_f32_e32 v86, v87, v89
	v_add_f32_e32 v6, v6, v71
	v_add_f32_e32 v85, v85, v86
	v_add_f32_e32 v6, v6, v79
	v_fmac_f32_e32 v90, 0x3e9e377a, v85
	v_fmac_f32_e32 v37, 0x3e9e377a, v85
	v_add_f32_e32 v85, v6, v81
	v_add_f32_e32 v6, v71, v79
	;; [unrolled: 30-line block ×3, first 2 shown]
	v_fma_f32 v71, -0.5, v6, v35
	v_sub_f32_e32 v6, v67, v80
	v_mov_b32_e32 v67, v71
	v_fmac_f32_e32 v67, 0x3f737871, v6
	v_sub_f32_e32 v12, v68, v70
	v_sub_f32_e32 v68, v57, v61
	;; [unrolled: 1-line block ×3, first 2 shown]
	v_fmac_f32_e32 v71, 0xbf737871, v6
	v_fmac_f32_e32 v67, 0x3f167918, v12
	v_add_f32_e32 v68, v68, v70
	v_fmac_f32_e32 v71, 0xbf167918, v12
	v_fmac_f32_e32 v67, 0x3e9e377a, v68
	;; [unrolled: 1-line block ×3, first 2 shown]
	v_add_f32_e32 v68, v57, v65
	v_fmac_f32_e32 v35, -0.5, v68
	v_mov_b32_e32 v68, v35
	v_fmac_f32_e32 v68, 0xbf737871, v12
	v_fmac_f32_e32 v35, 0x3f737871, v12
	;; [unrolled: 1-line block ×4, first 2 shown]
	v_add_f32_e32 v6, v13, v5
	v_add_f32_e32 v6, v6, v16
	v_sub_f32_e32 v57, v61, v57
	v_sub_f32_e32 v61, v64, v65
	v_add_f32_e32 v6, v6, v17
	v_add_f32_e32 v57, v57, v61
	;; [unrolled: 1-line block ×4, first 2 shown]
	v_fma_f32 v6, -0.5, v6, v13
	v_fmac_f32_e32 v68, 0x3e9e377a, v57
	v_fmac_f32_e32 v35, 0x3e9e377a, v57
	v_sub_f32_e32 v49, v49, v66
	v_mov_b32_e32 v57, v6
	v_fmac_f32_e32 v57, 0x3f737871, v49
	v_sub_f32_e32 v60, v60, v62
	v_sub_f32_e32 v12, v5, v16
	;; [unrolled: 1-line block ×3, first 2 shown]
	v_fmac_f32_e32 v6, 0xbf737871, v49
	v_fmac_f32_e32 v57, 0x3f167918, v60
	v_add_f32_e32 v12, v12, v62
	v_fmac_f32_e32 v6, 0xbf167918, v60
	v_fmac_f32_e32 v57, 0x3e9e377a, v12
	;; [unrolled: 1-line block ×3, first 2 shown]
	v_add_f32_e32 v12, v5, v48
	v_fmac_f32_e32 v13, -0.5, v12
	v_mov_b32_e32 v12, v13
	v_fmac_f32_e32 v12, 0xbf737871, v60
	v_sub_f32_e32 v5, v16, v5
	v_sub_f32_e32 v16, v17, v48
	v_fmac_f32_e32 v13, 0x3f737871, v60
	v_fmac_f32_e32 v12, 0x3f167918, v49
	v_add_f32_e32 v5, v5, v16
	v_fmac_f32_e32 v13, 0xbf167918, v49
	v_fmac_f32_e32 v12, 0x3e9e377a, v5
	;; [unrolled: 1-line block ×3, first 2 shown]
	s_waitcnt lgkmcnt(0)
	; wave barrier
	s_waitcnt lgkmcnt(0)
	ds_write2_b32 v102, v38, v40 offset1:9
	ds_write2_b32 v102, v41, v34 offset0:18 offset1:27
	ds_write_b32 v102, v39 offset:144
	ds_write2_b32 v44, v42, v91 offset1:9
	ds_write2_b32 v44, v90, v37 offset0:18 offset1:27
	ds_write_b32 v44, v43 offset:144
	;; [unrolled: 3-line block ×5, first 2 shown]
	v_add_u32_e32 v39, 0x1400, v77
	s_waitcnt lgkmcnt(0)
	; wave barrier
	s_waitcnt lgkmcnt(0)
	v_add_u32_e32 v34, 0x800, v77
	ds_read2_b32 v[44:45], v39 offset0:70 offset1:133
	v_add_u32_e32 v39, 0x400, v77
	v_add_u32_e32 v5, 0x600, v77
	ds_read2_b32 v[36:37], v34 offset0:64 offset1:163
	v_add_u32_e32 v34, 0xc00, v77
	;; [unrolled: 3-line block ×3, first 2 shown]
	ds_read2_b32 v[16:17], v77 offset1:225
	ds_read2_b32 v[48:49], v5 offset0:66 offset1:129
	ds_read2_b32 v[46:47], v34 offset0:132 offset1:195
	;; [unrolled: 1-line block ×5, first 2 shown]
	ds_read_b32 v60, v52
	ds_read_b32 v61, v51
	ds_read_b32 v64, v77 offset:5904
	s_and_saveexec_b64 s[2:3], s[0:1]
	s_cbranch_execz .LBB0_31
; %bb.30:
	v_add_u32_e32 v4, 0xd80, v77
	ds_read_b32 v57, v53
	ds_read2_b32 v[12:13], v5 offset0:30 offset1:255
	ds_read2_b32 v[6:7], v4 offset1:225
	v_add_u32_e32 v4, 0x1480, v77
	ds_read2_b32 v[4:5], v4 offset0:2 offset1:227
.LBB0_31:
	s_or_b64 exec, exec, s[2:3]
	v_subrev_u32_e32 v62, 45, v72
	v_cmp_gt_u32_e64 s[2:3], 45, v72
	v_cndmask_b32_e64 v71, v62, v72, s[2:3]
	v_mul_i32_i24_e32 v65, 6, v71
	v_mov_b32_e32 v66, 0
	v_lshlrev_b64 v[65:66], 3, v[65:66]
	v_mov_b32_e32 v62, s9
	v_add_co_u32_e64 v69, s[2:3], s8, v65
	v_addc_co_u32_e64 v70, s[2:3], v62, v66, s[2:3]
	global_load_dwordx4 v[65:68], v[69:70], off offset:368
	global_load_dwordx4 v[79:82], v[69:70], off offset:352
	;; [unrolled: 1-line block ×3, first 2 shown]
	s_movk_i32 s2, 0x6d
	v_mov_b32_e32 v87, 6
	s_mov_b32 s4, 0xbf5ff5aa
	s_mov_b32 s5, 0x3f3bfb3b
	;; [unrolled: 1-line block ×4, first 2 shown]
	s_waitcnt vmcnt(0) lgkmcnt(8)
	v_mul_f32_e32 v62, v17, v84
	v_fmac_f32_e32 v62, v15, v83
	v_mul_f32_e32 v15, v15, v84
	v_fma_f32 v17, v17, v83, -v15
	s_waitcnt lgkmcnt(7)
	v_mul_f32_e32 v15, v48, v86
	v_fmac_f32_e32 v15, v32, v85
	v_mul_f32_e32 v32, v32, v86
	v_fma_f32 v48, v48, v85, -v32
	v_mul_f32_e32 v32, v37, v80
	v_fmac_f32_e32 v32, v23, v79
	v_mul_f32_e32 v23, v23, v80
	v_fma_f32 v23, v37, v79, -v23
	s_waitcnt lgkmcnt(6)
	v_mul_f32_e32 v37, v46, v82
	v_fmac_f32_e32 v37, v30, v81
	v_mul_f32_e32 v30, v30, v82
	v_fma_f32 v30, v46, v81, -v30
	s_waitcnt lgkmcnt(5)
	v_mul_f32_e32 v46, v35, v66
	v_fmac_f32_e32 v46, v19, v65
	v_mul_f32_e32 v19, v19, v66
	v_fma_f32 v19, v35, v65, -v19
	v_mul_f32_e32 v35, v44, v68
	v_fmac_f32_e32 v35, v28, v67
	v_mul_f32_e32 v28, v28, v68
	v_fma_f32 v28, v44, v67, -v28
	v_mul_lo_u16_sdwa v44, v76, s2 dst_sel:DWORD dst_unused:UNUSED_PAD src0_sel:BYTE_0 src1_sel:DWORD
	v_sub_u16_sdwa v65, v76, v44 dst_sel:DWORD dst_unused:UNUSED_PAD src0_sel:DWORD src1_sel:BYTE_1
	v_lshrrev_b16_e32 v65, 1, v65
	v_and_b32_e32 v65, 0x7f, v65
	v_add_u16_sdwa v44, v65, v44 dst_sel:DWORD dst_unused:UNUSED_PAD src0_sel:DWORD src1_sel:BYTE_1
	v_lshrrev_b16_e32 v69, 5, v44
	v_mul_lo_u16_e32 v44, 45, v69
	v_sub_u16_e32 v70, v76, v44
	v_mul_u32_u24_sdwa v44, v70, v87 dst_sel:DWORD dst_unused:UNUSED_PAD src0_sel:BYTE_0 src1_sel:DWORD
	v_lshlrev_b32_e32 v44, 3, v44
	global_load_dwordx4 v[65:68], v44, s[8:9] offset:368
	global_load_dwordx4 v[79:82], v44, s[8:9] offset:352
	;; [unrolled: 1-line block ×3, first 2 shown]
	s_waitcnt vmcnt(0)
	v_mul_f32_e32 v44, v42, v84
	v_fmac_f32_e32 v44, v26, v83
	v_mul_f32_e32 v26, v26, v84
	v_fma_f32 v42, v42, v83, -v26
	v_mul_f32_e32 v26, v49, v86
	v_fmac_f32_e32 v26, v33, v85
	v_mul_f32_e32 v33, v33, v86
	v_fma_f32 v49, v49, v85, -v33
	s_waitcnt lgkmcnt(4)
	v_mul_f32_e32 v33, v40, v80
	v_fmac_f32_e32 v33, v24, v79
	v_mul_f32_e32 v24, v24, v80
	v_fma_f32 v24, v40, v79, -v24
	v_mul_f32_e32 v40, v47, v82
	v_fmac_f32_e32 v40, v31, v81
	v_mul_f32_e32 v31, v31, v82
	v_fma_f32 v31, v47, v81, -v31
	s_waitcnt lgkmcnt(3)
	v_mul_f32_e32 v47, v38, v66
	v_fmac_f32_e32 v47, v20, v65
	v_mul_f32_e32 v20, v20, v66
	v_fma_f32 v20, v38, v65, -v20
	v_mul_f32_e32 v38, v45, v68
	v_fmac_f32_e32 v38, v29, v67
	v_mul_f32_e32 v29, v29, v68
	v_fma_f32 v29, v45, v67, -v29
	v_mul_lo_u16_sdwa v45, v74, s2 dst_sel:DWORD dst_unused:UNUSED_PAD src0_sel:BYTE_0 src1_sel:DWORD
	v_sub_u16_sdwa v65, v74, v45 dst_sel:DWORD dst_unused:UNUSED_PAD src0_sel:DWORD src1_sel:BYTE_1
	v_lshrrev_b16_e32 v65, 1, v65
	v_and_b32_e32 v65, 0x7f, v65
	v_add_u16_sdwa v45, v65, v45 dst_sel:DWORD dst_unused:UNUSED_PAD src0_sel:DWORD src1_sel:BYTE_1
	v_lshrrev_b16_e32 v88, 5, v45
	v_mul_lo_u16_e32 v45, 45, v88
	v_sub_u16_e32 v89, v74, v45
	v_mul_u32_u24_sdwa v45, v89, v87 dst_sel:DWORD dst_unused:UNUSED_PAD src0_sel:BYTE_0 src1_sel:DWORD
	v_lshlrev_b32_e32 v45, 3, v45
	global_load_dwordx4 v[65:68], v45, s[8:9] offset:368
	global_load_dwordx4 v[79:82], v45, s[8:9] offset:352
	;; [unrolled: 1-line block ×3, first 2 shown]
	s_waitcnt vmcnt(0)
	v_mul_f32_e32 v45, v43, v84
	v_fmac_f32_e32 v45, v27, v83
	v_mul_f32_e32 v27, v27, v84
	v_fma_f32 v43, v43, v83, -v27
	v_mul_f32_e32 v27, v36, v86
	v_fmac_f32_e32 v27, v22, v85
	v_mul_f32_e32 v22, v22, v86
	v_fma_f32 v36, v36, v85, -v22
	;; [unrolled: 4-line block ×5, first 2 shown]
	s_waitcnt lgkmcnt(0)
	v_mul_f32_e32 v39, v64, v68
	v_fmac_f32_e32 v39, v63, v67
	v_mul_f32_e32 v63, v63, v68
	v_fma_f32 v63, v64, v67, -v63
	v_mul_lo_u16_sdwa v64, v75, s2 dst_sel:DWORD dst_unused:UNUSED_PAD src0_sel:BYTE_0 src1_sel:DWORD
	v_sub_u16_sdwa v65, v75, v64 dst_sel:DWORD dst_unused:UNUSED_PAD src0_sel:DWORD src1_sel:BYTE_1
	v_lshrrev_b16_e32 v65, 1, v65
	v_and_b32_e32 v65, 0x7f, v65
	v_add_u16_sdwa v64, v65, v64 dst_sel:DWORD dst_unused:UNUSED_PAD src0_sel:DWORD src1_sel:BYTE_1
	v_lshrrev_b16_e32 v64, 5, v64
	v_mul_lo_u16_e32 v64, 45, v64
	v_sub_u16_e32 v64, v75, v64
	v_and_b32_e32 v87, 0xff, v64
	v_mul_u32_u24_e32 v64, 6, v87
	v_lshlrev_b32_e32 v64, 3, v64
	global_load_dwordx4 v[79:82], v64, s[8:9] offset:368
	global_load_dwordx4 v[83:86], v64, s[8:9] offset:352
	;; [unrolled: 1-line block ×3, first 2 shown]
	v_sub_f32_e32 v94, v18, v25
	v_cmp_lt_u32_e64 s[2:3], 44, v72
	s_waitcnt lgkmcnt(0)
	; wave barrier
	s_waitcnt vmcnt(0)
	v_mul_f32_e32 v64, v12, v66
	v_fmac_f32_e32 v64, v10, v65
	v_mul_f32_e32 v10, v10, v66
	v_fma_f32 v66, v12, v65, -v10
	v_mul_f32_e32 v65, v13, v68
	v_mul_f32_e32 v10, v11, v68
	v_fmac_f32_e32 v65, v11, v67
	v_fma_f32 v68, v13, v67, -v10
	v_mul_f32_e32 v67, v6, v84
	v_fmac_f32_e32 v67, v2, v83
	v_mul_f32_e32 v2, v2, v84
	v_fma_f32 v2, v6, v83, -v2
	v_mul_f32_e32 v6, v7, v86
	v_fmac_f32_e32 v6, v3, v85
	v_mul_f32_e32 v3, v3, v86
	;; [unrolled: 4-line block ×4, first 2 shown]
	v_fma_f32 v1, v5, v81, -v1
	v_add_f32_e32 v5, v62, v35
	v_add_f32_e32 v11, v15, v46
	;; [unrolled: 1-line block ×4, first 2 shown]
	v_sub_f32_e32 v12, v48, v19
	v_sub_f32_e32 v79, v30, v23
	;; [unrolled: 1-line block ×5, first 2 shown]
	v_add_f32_e32 v13, v13, v80
	v_sub_f32_e32 v10, v17, v28
	v_add_f32_e32 v82, v79, v12
	v_sub_f32_e32 v83, v79, v12
	;; [unrolled: 2-line block ×3, first 2 shown]
	v_sub_f32_e32 v12, v12, v10
	v_add_f32_e32 v10, v82, v10
	v_mul_f32_e32 v5, 0x3f4a47b2, v5
	v_mul_f32_e32 v80, 0x3d64c772, v11
	;; [unrolled: 1-line block ×3, first 2 shown]
	v_mov_b32_e32 v84, v14
	v_mul_f32_e32 v83, 0xbf5ff5aa, v12
	v_fmac_f32_e32 v84, 0xbf955555, v13
	v_fma_f32 v13, v81, s5, -v80
	v_fma_f32 v80, v81, s6, -v5
	v_fmac_f32_e32 v5, 0x3d64c772, v11
	v_fma_f32 v11, v12, s4, -v82
	v_fmac_f32_e32 v82, 0xbeae86e6, v79
	v_fma_f32 v12, v79, s7, -v83
	v_add_f32_e32 v5, v5, v84
	v_add_f32_e32 v13, v13, v84
	v_fmac_f32_e32 v82, 0xbee1c552, v10
	v_fmac_f32_e32 v11, 0xbee1c552, v10
	;; [unrolled: 1-line block ×3, first 2 shown]
	v_add_f32_e32 v10, v82, v5
	v_sub_f32_e32 v81, v13, v11
	v_add_f32_e32 v11, v11, v13
	v_sub_f32_e32 v5, v5, v82
	v_add_f32_e32 v13, v44, v38
	v_add_f32_e32 v82, v26, v47
	;; [unrolled: 1-line block ×5, first 2 shown]
	v_sub_f32_e32 v83, v49, v20
	v_sub_f32_e32 v85, v31, v24
	;; [unrolled: 1-line block ×5, first 2 shown]
	v_add_f32_e32 v84, v84, v86
	v_add_f32_e32 v80, v12, v79
	v_sub_f32_e32 v12, v79, v12
	v_sub_f32_e32 v79, v42, v29
	v_add_f32_e32 v91, v85, v83
	v_sub_f32_e32 v92, v85, v83
	v_add_f32_e32 v86, v59, v84
	v_sub_f32_e32 v85, v79, v85
	v_sub_f32_e32 v83, v83, v79
	v_add_f32_e32 v79, v91, v79
	v_mul_f32_e32 v13, 0x3f4a47b2, v13
	v_mul_f32_e32 v59, 0x3d64c772, v82
	;; [unrolled: 1-line block ×3, first 2 shown]
	v_mov_b32_e32 v93, v86
	v_mul_f32_e32 v92, 0xbf5ff5aa, v83
	v_fmac_f32_e32 v93, 0xbf955555, v84
	v_fma_f32 v59, v90, s5, -v59
	v_fma_f32 v84, v90, s6, -v13
	v_fmac_f32_e32 v13, 0x3d64c772, v82
	v_fma_f32 v82, v83, s4, -v91
	v_fmac_f32_e32 v91, 0xbeae86e6, v85
	v_fma_f32 v83, v85, s7, -v92
	v_add_f32_e32 v13, v13, v93
	v_add_f32_e32 v59, v59, v93
	v_fmac_f32_e32 v91, 0xbee1c552, v79
	v_fmac_f32_e32 v82, 0xbee1c552, v79
	;; [unrolled: 1-line block ×3, first 2 shown]
	v_add_f32_e32 v79, v91, v13
	v_sub_f32_e32 v90, v59, v82
	v_add_f32_e32 v82, v82, v59
	v_sub_f32_e32 v13, v13, v91
	v_add_f32_e32 v59, v45, v39
	v_add_f32_e32 v91, v27, v34
	;; [unrolled: 1-line block ×6, first 2 shown]
	v_sub_f32_e32 v83, v84, v83
	v_sub_f32_e32 v84, v43, v63
	v_sub_f32_e32 v92, v36, v21
	v_sub_f32_e32 v96, v91, v59
	v_sub_f32_e32 v59, v59, v93
	v_sub_f32_e32 v91, v93, v91
	v_add_f32_e32 v93, v93, v95
	v_add_f32_e32 v97, v94, v92
	v_sub_f32_e32 v98, v94, v92
	v_sub_f32_e32 v92, v92, v84
	v_add_f32_e32 v95, v58, v93
	v_sub_f32_e32 v94, v84, v94
	v_add_f32_e32 v84, v97, v84
	v_mul_f32_e32 v58, 0x3f4a47b2, v59
	v_mul_f32_e32 v97, 0x3f08b237, v98
	;; [unrolled: 1-line block ×3, first 2 shown]
	v_mov_b32_e32 v99, v95
	v_mul_f32_e32 v59, 0x3d64c772, v91
	v_fmac_f32_e32 v99, 0xbf955555, v93
	v_fma_f32 v93, v96, s6, -v58
	v_fmac_f32_e32 v58, 0x3d64c772, v91
	v_fma_f32 v91, v92, s4, -v97
	;; [unrolled: 2-line block ×3, first 2 shown]
	v_fma_f32 v59, v96, s5, -v59
	v_add_f32_e32 v58, v58, v99
	v_add_f32_e32 v93, v93, v99
	v_fmac_f32_e32 v97, 0xbee1c552, v84
	v_fmac_f32_e32 v92, 0xbee1c552, v84
	v_add_f32_e32 v59, v59, v99
	v_fmac_f32_e32 v91, 0xbee1c552, v84
	v_add_f32_e32 v84, v97, v58
	v_add_f32_e32 v94, v92, v93
	v_sub_f32_e32 v92, v93, v92
	v_sub_f32_e32 v93, v58, v97
	v_mov_b32_e32 v58, 0x4ec
	v_sub_f32_e32 v96, v59, v91
	v_add_f32_e32 v91, v91, v59
	v_cndmask_b32_e64 v58, 0, v58, s[2:3]
	v_lshlrev_b32_e32 v59, 2, v71
	v_add3_u32 v58, 0, v58, v59
	ds_write2_b32 v58, v14, v10 offset1:45
	ds_write2_b32 v58, v80, v81 offset0:90 offset1:135
	ds_write2_b32 v58, v11, v12 offset0:180 offset1:225
	ds_write_b32 v58, v5 offset:1080
	v_mov_b32_e32 v10, 2
	v_mul_u32_u24_e32 v5, 0x4ec, v69
	v_lshlrev_b32_sdwa v11, v10, v70 dst_sel:DWORD dst_unused:UNUSED_PAD src0_sel:DWORD src1_sel:BYTE_0
	v_add3_u32 v59, 0, v5, v11
	v_mul_u32_u24_e32 v5, 0x4ec, v88
	v_lshlrev_b32_sdwa v10, v10, v89 dst_sel:DWORD dst_unused:UNUSED_PAD src0_sel:DWORD src1_sel:BYTE_0
	v_add3_u32 v69, 0, v5, v10
	v_lshl_add_u32 v5, v87, 2, 0
	ds_write2_b32 v59, v86, v79 offset1:45
	ds_write2_b32 v59, v85, v90 offset0:90 offset1:135
	ds_write2_b32 v59, v82, v83 offset0:180 offset1:225
	ds_write_b32 v59, v13 offset:1080
	ds_write2_b32 v69, v95, v84 offset1:45
	ds_write2_b32 v69, v94, v96 offset0:90 offset1:135
	ds_write2_b32 v69, v91, v92 offset0:180 offset1:225
	ds_write_b32 v69, v93 offset:1080
	s_and_saveexec_b64 s[2:3], s[0:1]
	s_cbranch_execz .LBB0_33
; %bb.32:
	v_add_f32_e32 v10, v64, v4
	v_add_f32_e32 v11, v67, v6
	v_sub_f32_e32 v12, v10, v11
	v_mul_f32_e32 v12, 0x3f4a47b2, v12
	v_add_f32_e32 v13, v65, v7
	v_sub_f32_e32 v14, v11, v13
	v_mov_b32_e32 v71, v12
	v_mul_f32_e32 v70, 0x3d64c772, v14
	v_fmac_f32_e32 v71, 0x3d64c772, v14
	v_add_f32_e32 v14, v13, v10
	v_add_f32_e32 v11, v11, v14
	;; [unrolled: 1-line block ×3, first 2 shown]
	v_mov_b32_e32 v56, v14
	v_sub_f32_e32 v79, v3, v2
	v_sub_f32_e32 v81, v68, v0
	v_fmac_f32_e32 v56, 0xbf955555, v11
	v_sub_f32_e32 v82, v79, v81
	v_add_f32_e32 v11, v71, v56
	v_sub_f32_e32 v71, v66, v1
	v_mul_f32_e32 v82, 0x3f08b237, v82
	v_sub_f32_e32 v80, v71, v79
	v_mov_b32_e32 v83, v82
	v_add_f32_e32 v79, v79, v81
	v_sub_f32_e32 v10, v13, v10
	v_sub_f32_e32 v13, v81, v71
	v_fmac_f32_e32 v83, 0xbeae86e6, v80
	v_add_f32_e32 v79, v79, v71
	v_fma_f32 v12, v10, s6, -v12
	v_mul_f32_e32 v71, 0xbf5ff5aa, v13
	v_fma_f32 v13, v13, s4, -v82
	v_fma_f32 v10, v10, s5, -v70
	v_fmac_f32_e32 v83, 0xbee1c552, v79
	v_fma_f32 v71, v80, s7, -v71
	v_fmac_f32_e32 v13, 0xbee1c552, v79
	v_add_f32_e32 v10, v10, v56
	v_sub_f32_e32 v84, v11, v83
	v_add_f32_e32 v12, v12, v56
	v_fmac_f32_e32 v71, 0xbee1c552, v79
	v_add_f32_e32 v56, v13, v10
	v_sub_f32_e32 v10, v10, v13
	v_add_f32_e32 v11, v83, v11
	v_add_u32_e32 v13, 0x1200, v5
	v_sub_f32_e32 v80, v12, v71
	v_add_f32_e32 v12, v71, v12
	ds_write2_b32 v13, v14, v11 offset0:108 offset1:153
	v_add_u32_e32 v11, 0x1400, v5
	ds_write2_b32 v11, v12, v10 offset0:70 offset1:115
	ds_write2_b32 v11, v56, v80 offset0:160 offset1:205
	ds_write_b32 v5, v84 offset:6120
.LBB0_33:
	s_or_b64 exec, exec, s[2:3]
	v_add_f32_e32 v10, v17, v28
	v_add_f32_e32 v12, v48, v19
	;; [unrolled: 1-line block ×4, first 2 shown]
	v_sub_f32_e32 v13, v15, v46
	v_sub_f32_e32 v15, v37, v32
	;; [unrolled: 1-line block ×5, first 2 shown]
	v_add_f32_e32 v14, v14, v17
	v_sub_f32_e32 v11, v62, v35
	v_sub_f32_e32 v28, v15, v13
	v_add_f32_e32 v32, v16, v14
	v_add_f32_e32 v23, v15, v13
	v_sub_f32_e32 v15, v11, v15
	v_sub_f32_e32 v13, v13, v11
	v_mul_f32_e32 v10, 0x3f4a47b2, v10
	v_mul_f32_e32 v16, 0x3d64c772, v12
	;; [unrolled: 1-line block ×3, first 2 shown]
	v_mov_b32_e32 v28, v32
	v_add_f32_e32 v11, v23, v11
	v_fmac_f32_e32 v28, 0xbf955555, v14
	v_fma_f32 v14, v19, s5, -v16
	v_fma_f32 v16, v19, s6, -v10
	v_fmac_f32_e32 v10, 0x3d64c772, v12
	v_fma_f32 v12, v13, s4, -v17
	v_fmac_f32_e32 v17, 0xbeae86e6, v15
	v_mul_f32_e32 v23, 0xbf5ff5aa, v13
	v_add_f32_e32 v10, v10, v28
	v_add_f32_e32 v14, v14, v28
	v_fmac_f32_e32 v17, 0xbee1c552, v11
	v_fmac_f32_e32 v12, 0xbee1c552, v11
	v_fma_f32 v13, v15, s7, -v23
	v_sub_f32_e32 v35, v10, v17
	v_add_f32_e32 v46, v12, v14
	v_sub_f32_e32 v48, v14, v12
	v_add_f32_e32 v62, v17, v10
	v_add_f32_e32 v10, v42, v29
	;; [unrolled: 1-line block ×4, first 2 shown]
	v_fmac_f32_e32 v13, 0xbee1c552, v11
	v_add_f32_e32 v14, v24, v31
	v_add_f32_e32 v16, v12, v10
	v_sub_f32_e32 v37, v15, v13
	v_add_f32_e32 v56, v13, v15
	v_sub_f32_e32 v13, v26, v47
	v_sub_f32_e32 v15, v40, v33
	;; [unrolled: 1-line block ×5, first 2 shown]
	v_add_f32_e32 v14, v14, v16
	v_sub_f32_e32 v11, v44, v38
	v_add_f32_e32 v19, v15, v13
	v_sub_f32_e32 v20, v15, v13
	v_add_f32_e32 v26, v61, v14
	v_sub_f32_e32 v15, v11, v15
	v_sub_f32_e32 v13, v13, v11
	v_add_f32_e32 v11, v19, v11
	v_mul_f32_e32 v10, 0x3f4a47b2, v10
	v_mul_f32_e32 v16, 0x3d64c772, v12
	;; [unrolled: 1-line block ×3, first 2 shown]
	v_mov_b32_e32 v23, v26
	v_fmac_f32_e32 v23, 0xbf955555, v14
	v_fma_f32 v14, v17, s5, -v16
	v_fma_f32 v16, v17, s6, -v10
	v_fmac_f32_e32 v10, 0x3d64c772, v12
	v_fma_f32 v12, v13, s4, -v19
	v_fmac_f32_e32 v19, 0xbeae86e6, v15
	v_mul_f32_e32 v20, 0xbf5ff5aa, v13
	v_add_f32_e32 v10, v10, v23
	v_add_f32_e32 v14, v14, v23
	v_fmac_f32_e32 v19, 0xbee1c552, v11
	v_fmac_f32_e32 v12, 0xbee1c552, v11
	v_fma_f32 v13, v15, s7, -v20
	v_sub_f32_e32 v33, v10, v19
	v_add_f32_e32 v44, v12, v14
	v_sub_f32_e32 v47, v14, v12
	v_add_f32_e32 v61, v19, v10
	v_add_f32_e32 v10, v43, v63
	;; [unrolled: 1-line block ×4, first 2 shown]
	v_fmac_f32_e32 v13, 0xbee1c552, v11
	v_add_f32_e32 v14, v25, v18
	v_add_f32_e32 v16, v12, v10
	v_sub_f32_e32 v42, v15, v13
	v_add_f32_e32 v49, v13, v15
	v_sub_f32_e32 v13, v27, v34
	v_sub_f32_e32 v15, v41, v22
	;; [unrolled: 1-line block ×5, first 2 shown]
	v_add_f32_e32 v14, v14, v16
	v_sub_f32_e32 v11, v45, v39
	v_add_f32_e32 v18, v15, v13
	v_sub_f32_e32 v19, v15, v13
	;; [unrolled: 2-line block ×3, first 2 shown]
	v_sub_f32_e32 v13, v13, v11
	v_add_f32_e32 v11, v18, v11
	v_mul_f32_e32 v10, 0x3f4a47b2, v10
	v_mul_f32_e32 v16, 0x3d64c772, v12
	;; [unrolled: 1-line block ×3, first 2 shown]
	v_mov_b32_e32 v20, v27
	v_mul_f32_e32 v19, 0xbf5ff5aa, v13
	v_fmac_f32_e32 v20, 0xbf955555, v14
	v_fma_f32 v14, v17, s5, -v16
	v_fma_f32 v16, v17, s6, -v10
	v_fmac_f32_e32 v10, 0x3d64c772, v12
	v_fma_f32 v12, v13, s4, -v18
	v_fmac_f32_e32 v18, 0xbeae86e6, v15
	v_fma_f32 v13, v15, s7, -v19
	v_add_f32_e32 v10, v10, v20
	v_fmac_f32_e32 v18, 0xbee1c552, v11
	v_add_f32_e32 v14, v14, v20
	v_add_f32_e32 v15, v16, v20
	v_fmac_f32_e32 v12, 0xbee1c552, v11
	v_fmac_f32_e32 v13, 0xbee1c552, v11
	v_sub_f32_e32 v34, v10, v18
	v_add_f32_e32 v70, v18, v10
	v_add_u32_e32 v10, 0x800, v77
	v_add_u32_e32 v16, 0x400, v77
	v_sub_f32_e32 v43, v15, v13
	v_add_f32_e32 v45, v12, v14
	v_sub_f32_e32 v60, v14, v12
	v_add_f32_e32 v63, v13, v15
	s_waitcnt lgkmcnt(0)
	; wave barrier
	s_waitcnt lgkmcnt(0)
	ds_read2_b32 v[12:13], v10 offset0:118 offset1:181
	v_add_u32_e32 v10, 0xc00, v77
	v_add_u32_e32 v14, 0x1200, v77
	ds_read2_b32 v[18:19], v16 offset0:122 offset1:185
	v_add_u32_e32 v16, 0xe00, v77
	v_add_u32_e32 v20, 0xa00, v77
	;; [unrolled: 1-line block ×4, first 2 shown]
	ds_read_b32 v38, v77
	ds_read2_b32 v[10:11], v10 offset0:114 offset1:177
	ds_read2_b32 v[14:15], v14 offset0:108 offset1:171
	;; [unrolled: 1-line block ×5, first 2 shown]
	ds_read_b32 v41, v52
	ds_read_b32 v36, v53
	ds_read2_b32 v[28:29], v24 offset0:120 offset1:183
	v_add_u32_e32 v24, 0x1000, v77
	ds_read2_b32 v[30:31], v24 offset0:110 offset1:173
	ds_read_b32 v39, v55
	ds_read_b32 v24, v54
	;; [unrolled: 1-line block ×3, first 2 shown]
	ds_read_b32 v25, v77 offset:6048
	s_waitcnt lgkmcnt(0)
	; wave barrier
	s_waitcnt lgkmcnt(0)
	ds_write2_b32 v58, v32, v35 offset1:45
	ds_write2_b32 v58, v37, v46 offset0:90 offset1:135
	ds_write2_b32 v58, v48, v56 offset0:180 offset1:225
	ds_write_b32 v58, v62 offset:1080
	ds_write2_b32 v59, v26, v33 offset1:45
	ds_write2_b32 v59, v42, v44 offset0:90 offset1:135
	ds_write2_b32 v59, v47, v49 offset0:180 offset1:225
	ds_write_b32 v59, v61 offset:1080
	;; [unrolled: 4-line block ×3, first 2 shown]
	s_and_saveexec_b64 s[2:3], s[0:1]
	s_cbranch_execz .LBB0_35
; %bb.34:
	v_add_f32_e32 v1, v66, v1
	v_add_f32_e32 v0, v68, v0
	;; [unrolled: 1-line block ×3, first 2 shown]
	v_sub_f32_e32 v3, v6, v67
	v_add_f32_e32 v6, v0, v1
	v_sub_f32_e32 v7, v65, v7
	v_sub_f32_e32 v26, v0, v1
	;; [unrolled: 1-line block ×4, first 2 shown]
	v_add_f32_e32 v2, v2, v6
	v_sub_f32_e32 v4, v64, v4
	v_add_f32_e32 v27, v3, v7
	v_add_f32_e32 v6, v57, v2
	v_sub_f32_e32 v32, v3, v7
	v_sub_f32_e32 v3, v4, v3
	;; [unrolled: 1-line block ×3, first 2 shown]
	v_add_f32_e32 v4, v27, v4
	v_mul_f32_e32 v27, 0x3d64c772, v0
	v_mov_b32_e32 v34, v6
	s_mov_b32 s1, 0x3f3bfb3b
	v_mul_f32_e32 v1, 0x3f4a47b2, v1
	v_mul_f32_e32 v32, 0x3f08b237, v32
	s_mov_b32 s0, 0xbf5ff5aa
	v_fmac_f32_e32 v34, 0xbf955555, v2
	v_fma_f32 v2, v26, s1, -v27
	s_mov_b32 s1, 0xbf3bfb3b
	v_mul_f32_e32 v33, 0xbf5ff5aa, v7
	v_fma_f32 v26, v26, s1, -v1
	v_fmac_f32_e32 v1, 0x3d64c772, v0
	v_fma_f32 v0, v7, s0, -v32
	s_mov_b32 s0, 0x3eae86e6
	v_fmac_f32_e32 v32, 0xbeae86e6, v3
	v_fma_f32 v3, v3, s0, -v33
	v_add_f32_e32 v1, v1, v34
	v_add_f32_e32 v2, v2, v34
	;; [unrolled: 1-line block ×3, first 2 shown]
	v_fmac_f32_e32 v32, 0xbee1c552, v4
	v_fmac_f32_e32 v0, 0xbee1c552, v4
	;; [unrolled: 1-line block ×3, first 2 shown]
	v_sub_f32_e32 v4, v1, v32
	v_sub_f32_e32 v26, v7, v3
	v_add_f32_e32 v27, v0, v2
	v_sub_f32_e32 v0, v2, v0
	v_add_f32_e32 v2, v3, v7
	v_add_u32_e32 v3, 0x1200, v5
	ds_write2_b32 v3, v6, v4 offset0:108 offset1:153
	v_add_u32_e32 v3, 0x1400, v5
	v_add_f32_e32 v1, v32, v1
	ds_write2_b32 v3, v26, v27 offset0:70 offset1:115
	ds_write2_b32 v3, v0, v2 offset0:160 offset1:205
	ds_write_b32 v5, v1 offset:6120
.LBB0_35:
	s_or_b64 exec, exec, s[2:3]
	s_waitcnt lgkmcnt(0)
	; wave barrier
	s_waitcnt lgkmcnt(0)
	s_and_saveexec_b64 s[0:1], vcc
	s_cbranch_execz .LBB0_37
; %bb.36:
	v_lshlrev_b32_e32 v26, 2, v78
	v_mov_b32_e32 v27, 0
	v_lshlrev_b64 v[0:1], 3, v[26:27]
	v_mov_b32_e32 v42, s9
	v_add_co_u32_e32 v32, vcc, s8, v0
	v_addc_co_u32_e32 v33, vcc, v42, v1, vcc
	global_load_dwordx4 v[4:7], v[32:33], off offset:2496
	global_load_dwordx4 v[0:3], v[32:33], off offset:2512
	v_add_u32_e32 v26, 0xc00, v77
	v_add_u32_e32 v32, 0x600, v77
	ds_read_b32 v49, v55
	ds_read_b32 v54, v54
	;; [unrolled: 1-line block ×5, first 2 shown]
	ds_read_b32 v53, v77 offset:6048
	ds_read_b32 v79, v77
	ds_read2_b32 v[47:48], v26 offset0:114 offset1:177
	ds_read2_b32 v[59:60], v32 offset0:120 offset1:183
	v_lshlrev_b32_e32 v26, 2, v75
	v_lshlrev_b64 v[32:33], 3, v[26:27]
	v_add_u32_e32 v37, 0x1000, v77
	v_add_co_u32_e32 v51, vcc, s8, v32
	v_addc_co_u32_e32 v52, vcc, v42, v33, vcc
	global_load_dwordx4 v[32:35], v[51:52], off offset:2512
	global_load_dwordx4 v[43:46], v[51:52], off offset:2496
	ds_read2_b32 v[61:62], v37 offset0:110 offset1:173
	s_waitcnt vmcnt(3)
	v_mul_f32_e32 v26, v10, v7
	v_mul_f32_e32 v37, v29, v5
	s_waitcnt vmcnt(2)
	v_mul_f32_e32 v51, v31, v1
	v_mul_f32_e32 v52, v25, v3
	s_waitcnt lgkmcnt(2)
	v_mul_f32_e32 v55, v47, v7
	s_waitcnt lgkmcnt(0)
	v_mul_f32_e32 v56, v62, v1
	v_fma_f32 v26, v6, v47, -v26
	v_fma_f32 v37, v4, v60, -v37
	;; [unrolled: 1-line block ×4, first 2 shown]
	v_mul_f32_e32 v57, v60, v5
	v_mul_f32_e32 v58, v53, v3
	v_fmac_f32_e32 v56, v31, v0
	v_sub_f32_e32 v0, v26, v37
	v_sub_f32_e32 v1, v47, v51
	v_add_f32_e32 v53, v26, v47
	v_fmac_f32_e32 v55, v10, v6
	v_fmac_f32_e32 v57, v29, v4
	;; [unrolled: 1-line block ×3, first 2 shown]
	v_add_f32_e32 v2, v37, v51
	v_sub_f32_e32 v7, v37, v26
	v_sub_f32_e32 v52, v51, v47
	v_add_f32_e32 v64, v0, v1
	v_fma_f32 v1, -0.5, v53, v54
	v_sub_f32_e32 v25, v57, v58
	v_sub_f32_e32 v3, v55, v57
	v_sub_f32_e32 v4, v56, v58
	v_fma_f32 v5, -0.5, v2, v54
	v_add_f32_e32 v52, v7, v52
	v_mov_b32_e32 v7, v1
	v_sub_f32_e32 v10, v55, v56
	v_add_f32_e32 v6, v57, v58
	v_add_f32_e32 v65, v3, v4
	v_mov_b32_e32 v3, v5
	v_fmac_f32_e32 v7, 0x3f737871, v25
	v_fmac_f32_e32 v1, 0xbf737871, v25
	v_fma_f32 v4, -0.5, v6, v24
	v_fmac_f32_e32 v5, 0xbf737871, v10
	v_fmac_f32_e32 v3, 0x3f737871, v10
	v_fmac_f32_e32 v7, 0x3f167918, v10
	v_fmac_f32_e32 v1, 0xbf167918, v10
	v_add_f32_e32 v10, v37, v54
	v_sub_f32_e32 v31, v26, v47
	v_mov_b32_e32 v2, v4
	v_add_f32_e32 v10, v26, v10
	s_waitcnt vmcnt(0)
	v_mul_f32_e32 v26, v28, v44
	v_sub_f32_e32 v29, v37, v51
	v_fmac_f32_e32 v4, 0x3f737871, v31
	v_fmac_f32_e32 v2, 0xbf737871, v31
	v_fma_f32 v37, v43, v59, -v26
	v_mul_f32_e32 v26, v30, v33
	v_fmac_f32_e32 v4, 0xbf167918, v29
	v_fmac_f32_e32 v2, 0x3f167918, v29
	v_add_f32_e32 v10, v47, v10
	v_fma_f32 v47, v32, v61, -v26
	v_add_u32_e32 v26, 0x1400, v77
	v_add_f32_e32 v63, v55, v56
	v_fmac_f32_e32 v4, 0x3e9e377a, v65
	v_fmac_f32_e32 v2, 0x3e9e377a, v65
	ds_read2_b32 v[65:66], v26 offset0:106 offset1:169
	v_lshlrev_b32_e32 v26, 2, v74
	v_fma_f32 v0, -0.5, v63, v24
	v_fmac_f32_e32 v5, 0x3f167918, v25
	v_fmac_f32_e32 v3, 0xbf167918, v25
	;; [unrolled: 1-line block ×4, first 2 shown]
	v_add_f32_e32 v25, v51, v10
	v_lshlrev_b64 v[51:52], 3, v[26:27]
	v_mov_b32_e32 v6, v0
	v_add_f32_e32 v10, v24, v57
	v_sub_f32_e32 v60, v57, v55
	v_sub_f32_e32 v62, v58, v56
	v_fmac_f32_e32 v6, 0xbf737871, v29
	v_fmac_f32_e32 v0, 0x3f737871, v29
	v_add_f32_e32 v10, v55, v10
	v_add_co_u32_e32 v67, vcc, s8, v51
	v_add_f32_e32 v53, v60, v62
	v_fmac_f32_e32 v6, 0xbf167918, v31
	v_fmac_f32_e32 v0, 0x3f167918, v31
	v_add_u32_e32 v24, 0xa00, v77
	v_add_f32_e32 v10, v10, v56
	v_addc_co_u32_e32 v68, vcc, v42, v52, vcc
	v_fmac_f32_e32 v5, 0x3e9e377a, v64
	v_fmac_f32_e32 v3, 0x3e9e377a, v64
	;; [unrolled: 1-line block ×4, first 2 shown]
	ds_read2_b32 v[63:64], v24 offset0:116 offset1:179
	v_add_f32_e32 v24, v10, v58
	global_load_dwordx4 v[51:54], v[67:68], off offset:2512
	global_load_dwordx4 v[55:58], v[67:68], off offset:2496
	v_mul_f32_e32 v10, v21, v46
	v_mul_f32_e32 v44, v59, v44
	s_waitcnt lgkmcnt(0)
	v_mul_f32_e32 v46, v64, v46
	v_mul_f32_e32 v26, v23, v35
	v_fmac_f32_e32 v46, v21, v45
	v_mul_f32_e32 v21, v61, v33
	v_fmac_f32_e32 v44, v28, v43
	v_mul_f32_e32 v43, v66, v35
	v_fma_f32 v10, v45, v64, -v10
	v_fma_f32 v26, v34, v66, -v26
	v_fmac_f32_e32 v21, v30, v32
	v_fmac_f32_e32 v43, v23, v34
	v_sub_f32_e32 v29, v10, v37
	v_sub_f32_e32 v31, v47, v26
	;; [unrolled: 1-line block ×4, first 2 shown]
	v_add_f32_e32 v60, v29, v31
	v_add_f32_e32 v29, v37, v26
	v_add_f32_e32 v59, v28, v30
	v_sub_f32_e32 v61, v37, v26
	v_sub_f32_e32 v30, v37, v10
	;; [unrolled: 1-line block ×3, first 2 shown]
	v_add_f32_e32 v37, v37, v69
	v_sub_f32_e32 v62, v10, v47
	v_add_f32_e32 v64, v30, v31
	v_add_f32_e32 v30, v10, v47
	;; [unrolled: 1-line block ×6, first 2 shown]
	v_fma_f32 v31, -0.5, v30, v69
	v_sub_f32_e32 v30, v44, v46
	v_sub_f32_e32 v34, v43, v21
	v_add_f32_e32 v10, v46, v10
	v_add_f32_e32 v28, v44, v43
	;; [unrolled: 1-line block ×5, first 2 shown]
	v_lshlrev_b32_e32 v26, 2, v76
	v_fma_f32 v33, -0.5, v29, v69
	v_sub_f32_e32 v23, v44, v43
	v_fma_f32 v32, -0.5, v28, v36
	v_fma_f32 v30, -0.5, v30, v36
	v_add_f32_e32 v36, v10, v43
	v_lshlrev_b64 v[43:44], 3, v[26:27]
	v_sub_f32_e32 v45, v46, v21
	v_mov_b32_e32 v29, v33
	v_mov_b32_e32 v28, v32
	v_fmac_f32_e32 v29, 0x3f737871, v45
	v_fmac_f32_e32 v28, 0xbf737871, v62
	v_mov_b32_e32 v35, v31
	v_mov_b32_e32 v34, v30
	v_fmac_f32_e32 v33, 0xbf737871, v45
	v_fmac_f32_e32 v32, 0x3f737871, v62
	v_add_u32_e32 v10, 0x400, v77
	v_add_co_u32_e32 v68, vcc, s8, v43
	v_fmac_f32_e32 v29, 0xbf167918, v23
	v_fmac_f32_e32 v28, 0x3f167918, v61
	;; [unrolled: 1-line block ×8, first 2 shown]
	ds_read2_b32 v[66:67], v10 offset0:122 offset1:185
	v_addc_co_u32_e32 v69, vcc, v42, v44, vcc
	v_fmac_f32_e32 v29, 0x3e9e377a, v60
	v_fmac_f32_e32 v28, 0x3e9e377a, v59
	;; [unrolled: 1-line block ×8, first 2 shown]
	global_load_dwordx4 v[43:46], v[68:69], off offset:2512
	global_load_dwordx4 v[59:62], v[68:69], off offset:2496
	v_fmac_f32_e32 v35, 0x3e9e377a, v64
	s_waitcnt vmcnt(3)
	v_mul_f32_e32 v23, v22, v54
	s_waitcnt vmcnt(2)
	v_mul_f32_e32 v21, v20, v58
	v_fma_f32 v26, v57, v63, -v21
	v_add_u32_e32 v21, 0xe00, v77
	ds_read2_b32 v[68:69], v21 offset0:112 offset1:175
	v_mul_f32_e32 v10, v19, v56
	s_waitcnt lgkmcnt(1)
	v_mul_f32_e32 v56, v67, v56
	v_fma_f32 v47, v53, v65, -v23
	v_mul_f32_e32 v23, v17, v52
	v_fmac_f32_e32 v56, v19, v55
	v_mul_f32_e32 v19, v65, v54
	v_mul_f32_e32 v54, v63, v58
	s_waitcnt lgkmcnt(0)
	v_mul_f32_e32 v52, v69, v52
	v_fmac_f32_e32 v19, v22, v53
	v_fmac_f32_e32 v54, v20, v57
	;; [unrolled: 1-line block ×3, first 2 shown]
	v_sub_f32_e32 v20, v56, v54
	v_sub_f32_e32 v22, v19, v52
	v_fma_f32 v10, v55, v67, -v10
	v_fma_f32 v74, v51, v69, -v23
	v_add_f32_e32 v51, v20, v22
	v_add_f32_e32 v20, v54, v52
	v_sub_f32_e32 v21, v10, v26
	v_sub_f32_e32 v23, v47, v74
	v_fma_f32 v22, -0.5, v20, v41
	v_fmac_f32_e32 v31, 0x3e9e377a, v64
	v_add_f32_e32 v64, v21, v23
	v_add_f32_e32 v21, v26, v74
	v_sub_f32_e32 v55, v10, v47
	v_mov_b32_e32 v20, v22
	v_fma_f32 v23, -0.5, v21, v71
	v_fmac_f32_e32 v20, 0x3f737871, v55
	v_sub_f32_e32 v57, v26, v74
	v_fmac_f32_e32 v22, 0xbf737871, v55
	v_sub_f32_e32 v53, v56, v19
	v_mov_b32_e32 v21, v23
	v_fmac_f32_e32 v20, 0x3f167918, v57
	v_fmac_f32_e32 v22, 0xbf167918, v57
	;; [unrolled: 1-line block ×3, first 2 shown]
	v_sub_f32_e32 v17, v54, v52
	v_fmac_f32_e32 v20, 0x3e9e377a, v51
	v_fmac_f32_e32 v23, 0x3f737871, v53
	;; [unrolled: 1-line block ×3, first 2 shown]
	v_sub_f32_e32 v51, v26, v10
	v_sub_f32_e32 v58, v74, v47
	v_fmac_f32_e32 v21, 0xbf167918, v17
	v_fmac_f32_e32 v23, 0x3f167918, v17
	v_add_f32_e32 v51, v51, v58
	v_add_f32_e32 v58, v10, v47
	;; [unrolled: 1-line block ×3, first 2 shown]
	v_fmac_f32_e32 v21, 0x3e9e377a, v64
	v_fmac_f32_e32 v23, 0x3e9e377a, v64
	v_fma_f32 v64, -0.5, v58, v71
	v_add_f32_e32 v10, v26, v10
	v_fmac_f32_e32 v34, 0x3e9e377a, v70
	v_fmac_f32_e32 v30, 0x3e9e377a, v70
	v_mov_b32_e32 v70, v64
	v_add_f32_e32 v10, v74, v10
	v_fmac_f32_e32 v70, 0x3f737871, v17
	v_fmac_f32_e32 v64, 0xbf737871, v17
	v_add_f32_e32 v75, v47, v10
	v_sub_f32_e32 v10, v54, v56
	v_sub_f32_e32 v17, v52, v19
	v_add_f32_e32 v10, v10, v17
	v_add_f32_e32 v17, v56, v19
	v_fma_f32 v63, -0.5, v17, v41
	v_mov_b32_e32 v69, v63
	v_lshlrev_b32_e32 v26, 2, v72
	v_fmac_f32_e32 v69, 0xbf737871, v57
	v_fmac_f32_e32 v63, 0x3f737871, v57
	v_lshlrev_b64 v[26:27], 3, v[26:27]
	v_fmac_f32_e32 v69, 0x3f167918, v55
	v_fmac_f32_e32 v63, 0xbf167918, v55
	;; [unrolled: 1-line block ×4, first 2 shown]
	v_add_f32_e32 v10, v41, v56
	v_add_co_u32_e32 v26, vcc, s8, v26
	v_fmac_f32_e32 v70, 0xbf167918, v53
	v_fmac_f32_e32 v64, 0x3f167918, v53
	v_add_f32_e32 v10, v10, v54
	v_addc_co_u32_e32 v27, vcc, v42, v27, vcc
	v_fmac_f32_e32 v70, 0x3e9e377a, v51
	v_fmac_f32_e32 v64, 0x3e9e377a, v51
	v_add_f32_e32 v10, v10, v52
	global_load_dwordx4 v[51:54], v[26:27], off offset:2512
	global_load_dwordx4 v[55:58], v[26:27], off offset:2496
	v_add_u32_e32 v17, 0x800, v77
	ds_read2_b32 v[26:27], v17 offset0:118 offset1:181
	v_add_u32_e32 v17, 0x1200, v77
	ds_read2_b32 v[41:42], v17 offset0:108 offset1:171
	v_add_f32_e32 v74, v19, v10
	s_waitcnt vmcnt(2)
	v_mul_f32_e32 v17, v13, v62
	v_mul_f32_e32 v19, v15, v46
	v_mul_f32_e32 v10, v18, v60
	s_waitcnt lgkmcnt(1)
	v_fma_f32 v47, v61, v27, -v17
	s_waitcnt lgkmcnt(0)
	v_fma_f32 v65, v45, v42, -v19
	v_mul_f32_e32 v19, v16, v44
	v_mul_f32_e32 v27, v27, v62
	v_fma_f32 v10, v59, v66, -v10
	v_fma_f32 v67, v43, v68, -v19
	v_fmac_f32_e32 v27, v13, v61
	v_mul_f32_e32 v13, v68, v44
	v_mul_f32_e32 v46, v42, v46
	v_fmac_f32_e32 v13, v16, v43
	v_sub_f32_e32 v42, v47, v10
	v_sub_f32_e32 v43, v67, v65
	;; [unrolled: 1-line block ×3, first 2 shown]
	v_mul_f32_e32 v60, v66, v60
	v_sub_f32_e32 v62, v10, v65
	v_add_f32_e32 v68, v42, v43
	v_add_f32_e32 v42, v10, v65
	v_add_f32_e32 v10, v10, v78
	v_fmac_f32_e32 v60, v18, v59
	v_fmac_f32_e32 v46, v15, v45
	v_add_f32_e32 v10, v47, v10
	v_sub_f32_e32 v19, v65, v67
	v_sub_f32_e32 v16, v60, v27
	;; [unrolled: 1-line block ×3, first 2 shown]
	v_add_f32_e32 v10, v67, v10
	v_add_f32_e32 v71, v17, v19
	;; [unrolled: 1-line block ×5, first 2 shown]
	v_sub_f32_e32 v66, v47, v67
	v_add_f32_e32 v47, v65, v10
	v_add_f32_e32 v10, v40, v60
	v_fma_f32 v16, -0.5, v16, v40
	v_add_f32_e32 v10, v10, v27
	v_fma_f32 v17, -0.5, v17, v78
	v_mov_b32_e32 v18, v16
	v_fma_f32 v43, -0.5, v42, v78
	v_sub_f32_e32 v42, v27, v60
	v_sub_f32_e32 v44, v13, v46
	v_add_f32_e32 v10, v10, v13
	v_sub_f32_e32 v15, v60, v46
	v_mov_b32_e32 v19, v17
	v_sub_f32_e32 v59, v27, v13
	v_fmac_f32_e32 v18, 0x3f737871, v62
	v_add_f32_e32 v76, v42, v44
	v_add_f32_e32 v42, v60, v46
	v_fmac_f32_e32 v16, 0xbf737871, v62
	v_add_f32_e32 v46, v46, v10
	v_fmac_f32_e32 v19, 0xbf737871, v15
	v_fmac_f32_e32 v18, 0x3f167918, v66
	v_mov_b32_e32 v45, v43
	v_fma_f32 v42, -0.5, v42, v40
	v_fmac_f32_e32 v17, 0x3f737871, v15
	v_fmac_f32_e32 v16, 0xbf167918, v66
	;; [unrolled: 1-line block ×5, first 2 shown]
	v_mov_b32_e32 v44, v42
	v_fmac_f32_e32 v43, 0xbf737871, v59
	v_fmac_f32_e32 v17, 0x3f167918, v59
	;; [unrolled: 1-line block ×12, first 2 shown]
	s_waitcnt vmcnt(1)
	v_mul_f32_e32 v13, v14, v54
	s_waitcnt vmcnt(0)
	v_mul_f32_e32 v10, v39, v56
	v_fma_f32 v40, v55, v49, -v10
	v_mul_f32_e32 v10, v12, v58
	v_fma_f32 v60, v53, v41, -v13
	;; [unrolled: 2-line block ×3, first 2 shown]
	v_fma_f32 v61, v51, v48, -v13
	v_sub_f32_e32 v10, v40, v59
	v_sub_f32_e32 v13, v60, v61
	v_mul_f32_e32 v49, v49, v56
	v_mul_f32_e32 v41, v41, v54
	v_mul_f32_e32 v54, v26, v58
	v_mul_f32_e32 v48, v48, v52
	v_add_f32_e32 v62, v10, v13
	v_add_f32_e32 v10, v59, v61
	v_fmac_f32_e32 v49, v39, v55
	v_fmac_f32_e32 v41, v14, v53
	v_fmac_f32_e32 v54, v12, v57
	v_fmac_f32_e32 v48, v11, v51
	v_fma_f32 v13, -0.5, v10, v79
	v_sub_f32_e32 v10, v49, v54
	v_sub_f32_e32 v11, v41, v48
	v_add_f32_e32 v39, v10, v11
	v_add_f32_e32 v10, v54, v48
	v_fma_f32 v12, -0.5, v10, v38
	v_sub_f32_e32 v10, v59, v40
	v_sub_f32_e32 v11, v61, v60
	v_add_f32_e32 v56, v10, v11
	v_add_f32_e32 v10, v40, v60
	;; [unrolled: 5-line block ×3, first 2 shown]
	v_sub_f32_e32 v52, v40, v60
	v_mov_b32_e32 v14, v12
	v_fma_f32 v10, -0.5, v10, v38
	v_add_f32_e32 v38, v38, v49
	v_fmac_f32_e32 v14, 0x3f737871, v52
	v_sub_f32_e32 v55, v59, v61
	v_fmac_f32_e32 v12, 0xbf737871, v52
	v_add_f32_e32 v38, v38, v54
	v_fmac_f32_e32 v14, 0x3f167918, v55
	v_fmac_f32_e32 v12, 0xbf167918, v55
	v_add_f32_e32 v38, v38, v48
	v_sub_f32_e32 v53, v49, v41
	v_fmac_f32_e32 v14, 0x3e9e377a, v39
	v_fmac_f32_e32 v12, 0x3e9e377a, v39
	v_add_f32_e32 v39, v40, v79
	v_add_f32_e32 v38, v41, v38
	v_mad_u64_u32 v[40:41], s[0:1], s12, v72, 0
	v_sub_f32_e32 v51, v54, v48
	v_mov_b32_e32 v27, v11
	v_mad_u64_u32 v[48:49], s[0:1], s13, v72, v[41:42]
	v_mov_b32_e32 v15, v13
	v_fmac_f32_e32 v27, 0xbf737871, v51
	v_fmac_f32_e32 v11, 0x3f737871, v51
	;; [unrolled: 1-line block ×6, first 2 shown]
	v_mov_b32_e32 v41, v48
	v_mov_b32_e32 v48, s15
	v_add_co_u32_e32 v53, vcc, s14, v8
	v_addc_co_u32_e32 v54, vcc, v48, v9, vcc
	v_add_u32_e32 v48, 0x13b, v72
	v_lshlrev_b64 v[8:9], 3, v[40:41]
	v_mad_u64_u32 v[40:41], s[0:1], s12, v48, 0
	v_mov_b32_e32 v26, v10
	v_fmac_f32_e32 v26, 0x3f737871, v55
	v_mad_u64_u32 v[48:49], s[0:1], s13, v48, v[41:42]
	v_fmac_f32_e32 v10, 0xbf737871, v55
	v_add_u32_e32 v49, 0x276, v72
	v_fmac_f32_e32 v15, 0xbf167918, v51
	v_fmac_f32_e32 v26, 0xbf167918, v52
	;; [unrolled: 1-line block ×4, first 2 shown]
	v_mad_u64_u32 v[51:52], s[0:1], s12, v49, 0
	v_add_f32_e32 v39, v59, v39
	v_add_f32_e32 v39, v61, v39
	v_add_co_u32_e32 v8, vcc, v53, v8
	v_add_f32_e32 v39, v60, v39
	v_addc_co_u32_e32 v9, vcc, v54, v9, vcc
	global_store_dwordx2 v[8:9], v[38:39], off
	v_mov_b32_e32 v38, v52
	v_mov_b32_e32 v41, v48
	v_mad_u64_u32 v[38:39], s[0:1], s13, v49, v[38:39]
	v_lshlrev_b64 v[8:9], 3, v[40:41]
	v_fmac_f32_e32 v13, 0x3e9e377a, v62
	v_add_co_u32_e32 v8, vcc, v53, v8
	v_addc_co_u32_e32 v9, vcc, v54, v9, vcc
	v_mov_b32_e32 v52, v38
	v_add_u32_e32 v38, 0x3b1, v72
	global_store_dwordx2 v[8:9], v[12:13], off
	v_mad_u64_u32 v[12:13], s[0:1], s12, v38, 0
	v_lshlrev_b64 v[8:9], 3, v[51:52]
	v_add_u32_e32 v41, 0x4ec, v72
	v_mad_u64_u32 v[38:39], s[0:1], s13, v38, v[13:14]
	v_add_co_u32_e32 v8, vcc, v53, v8
	v_fmac_f32_e32 v27, 0x3e9e377a, v56
	v_fmac_f32_e32 v26, 0x3e9e377a, v57
	v_addc_co_u32_e32 v9, vcc, v54, v9, vcc
	v_mad_u64_u32 v[39:40], s[0:1], s12, v41, 0
	v_mov_b32_e32 v13, v38
	global_store_dwordx2 v[8:9], v[26:27], off
	v_lshlrev_b64 v[8:9], 3, v[12:13]
	v_fmac_f32_e32 v11, 0x3e9e377a, v56
	v_add_co_u32_e32 v8, vcc, v53, v8
	v_fmac_f32_e32 v10, 0x3e9e377a, v57
	v_mov_b32_e32 v12, v40
	v_addc_co_u32_e32 v9, vcc, v54, v9, vcc
	v_mad_u64_u32 v[12:13], s[0:1], s13, v41, v[12:13]
	global_store_dwordx2 v[8:9], v[10:11], off
	v_mad_u64_u32 v[10:11], s[2:3], s12, v73, 0
	v_mov_b32_e32 v40, v12
	v_add_u32_e32 v26, 0x17a, v72
	v_mad_u64_u32 v[11:12], s[2:3], s13, v73, v[11:12]
	v_lshlrev_b64 v[8:9], 3, v[39:40]
	v_mad_u64_u32 v[12:13], s[2:3], s12, v26, 0
	v_add_co_u32_e32 v8, vcc, v53, v8
	v_fmac_f32_e32 v15, 0x3e9e377a, v62
	v_addc_co_u32_e32 v9, vcc, v54, v9, vcc
	global_store_dwordx2 v[8:9], v[14:15], off
	v_lshlrev_b64 v[8:9], 3, v[10:11]
	v_mov_b32_e32 v10, v13
	v_mad_u64_u32 v[10:11], s[2:3], s13, v26, v[10:11]
	v_add_co_u32_e32 v8, vcc, v53, v8
	v_addc_co_u32_e32 v9, vcc, v54, v9, vcc
	v_mov_b32_e32 v13, v10
	global_store_dwordx2 v[8:9], v[46:47], off
	v_lshlrev_b64 v[8:9], 3, v[12:13]
	v_add_u32_e32 v12, 0x2b5, v72
	v_mad_u64_u32 v[10:11], s[2:3], s12, v12, 0
	v_add_u32_e32 v14, 0x3f0, v72
	v_add_co_u32_e32 v8, vcc, v53, v8
	v_mad_u64_u32 v[11:12], s[2:3], s13, v12, v[11:12]
	v_mad_u64_u32 v[12:13], s[2:3], s12, v14, 0
	v_addc_co_u32_e32 v9, vcc, v54, v9, vcc
	global_store_dwordx2 v[8:9], v[16:17], off
	v_lshlrev_b64 v[8:9], 3, v[10:11]
	v_mov_b32_e32 v10, v13
	v_mad_u64_u32 v[10:11], s[2:3], s13, v14, v[10:11]
	v_add_co_u32_e32 v8, vcc, v53, v8
	v_addc_co_u32_e32 v9, vcc, v54, v9, vcc
	v_mov_b32_e32 v13, v10
	global_store_dwordx2 v[8:9], v[42:43], off
	v_lshlrev_b64 v[8:9], 3, v[12:13]
	v_add_u32_e32 v12, 0x52b, v72
	v_mad_u64_u32 v[10:11], s[2:3], s12, v12, 0
	v_add_u32_e32 v14, 0x7e, v72
	v_add_co_u32_e32 v8, vcc, v53, v8
	v_mad_u64_u32 v[11:12], s[2:3], s13, v12, v[11:12]
	v_mad_u64_u32 v[12:13], s[2:3], s12, v14, 0
	v_fmac_f32_e32 v45, 0x3e9e377a, v68
	v_fmac_f32_e32 v44, 0x3e9e377a, v76
	v_addc_co_u32_e32 v9, vcc, v54, v9, vcc
	global_store_dwordx2 v[8:9], v[44:45], off
	v_lshlrev_b64 v[8:9], 3, v[10:11]
	v_mov_b32_e32 v10, v13
	v_mad_u64_u32 v[10:11], s[2:3], s13, v14, v[10:11]
	v_add_co_u32_e32 v8, vcc, v53, v8
	v_fmac_f32_e32 v19, 0x3e9e377a, v71
	v_addc_co_u32_e32 v9, vcc, v54, v9, vcc
	v_mov_b32_e32 v13, v10
	global_store_dwordx2 v[8:9], v[18:19], off
	v_lshlrev_b64 v[8:9], 3, v[12:13]
	v_add_u32_e32 v12, 0x1b9, v72
	v_mad_u64_u32 v[10:11], s[2:3], s12, v12, 0
	v_add_u32_e32 v14, 0x2f4, v72
	v_add_co_u32_e32 v8, vcc, v53, v8
	v_mad_u64_u32 v[11:12], s[2:3], s13, v12, v[11:12]
	v_mad_u64_u32 v[12:13], s[2:3], s12, v14, 0
	v_addc_co_u32_e32 v9, vcc, v54, v9, vcc
	global_store_dwordx2 v[8:9], v[74:75], off
	v_lshlrev_b64 v[8:9], 3, v[10:11]
	v_mov_b32_e32 v10, v13
	v_mad_u64_u32 v[10:11], s[2:3], s13, v14, v[10:11]
	v_add_co_u32_e32 v8, vcc, v53, v8
	v_addc_co_u32_e32 v9, vcc, v54, v9, vcc
	v_mov_b32_e32 v13, v10
	global_store_dwordx2 v[8:9], v[22:23], off
	v_lshlrev_b64 v[8:9], 3, v[12:13]
	v_add_u32_e32 v12, 0x42f, v72
	v_mad_u64_u32 v[10:11], s[2:3], s12, v12, 0
	v_add_u32_e32 v14, 0x56a, v72
	v_add_co_u32_e32 v8, vcc, v53, v8
	v_mad_u64_u32 v[11:12], s[2:3], s13, v12, v[11:12]
	v_mad_u64_u32 v[12:13], s[2:3], s12, v14, 0
	v_addc_co_u32_e32 v9, vcc, v54, v9, vcc
	global_store_dwordx2 v[8:9], v[63:64], off
	v_lshlrev_b64 v[8:9], 3, v[10:11]
	v_mov_b32_e32 v10, v13
	v_mad_u64_u32 v[10:11], s[2:3], s13, v14, v[10:11]
	v_add_co_u32_e32 v8, vcc, v53, v8
	v_addc_co_u32_e32 v9, vcc, v54, v9, vcc
	v_mov_b32_e32 v13, v10
	global_store_dwordx2 v[8:9], v[69:70], off
	v_lshlrev_b64 v[8:9], 3, v[12:13]
	v_add_u32_e32 v12, 0xbd, v72
	v_mad_u64_u32 v[10:11], s[2:3], s12, v12, 0
	v_add_co_u32_e32 v8, vcc, v53, v8
	v_mad_u64_u32 v[11:12], s[2:3], s13, v12, v[11:12]
	v_mad_u64_u32 v[12:13], s[2:3], s12, v50, 0
	v_addc_co_u32_e32 v9, vcc, v54, v9, vcc
	global_store_dwordx2 v[8:9], v[20:21], off
	v_lshlrev_b64 v[8:9], 3, v[10:11]
	v_mov_b32_e32 v10, v13
	v_mad_u64_u32 v[10:11], s[2:3], s13, v50, v[10:11]
	v_add_co_u32_e32 v8, vcc, v53, v8
	v_addc_co_u32_e32 v9, vcc, v54, v9, vcc
	v_mov_b32_e32 v13, v10
	global_store_dwordx2 v[8:9], v[36:37], off
	v_lshlrev_b64 v[8:9], 3, v[12:13]
	v_add_u32_e32 v12, 0x333, v72
	v_mad_u64_u32 v[10:11], s[2:3], s12, v12, 0
	v_add_u32_e32 v14, 0x46e, v72
	v_add_co_u32_e32 v8, vcc, v53, v8
	v_mad_u64_u32 v[11:12], s[2:3], s13, v12, v[11:12]
	v_mad_u64_u32 v[12:13], s[2:3], s12, v14, 0
	v_addc_co_u32_e32 v9, vcc, v54, v9, vcc
	global_store_dwordx2 v[8:9], v[34:35], off
	v_lshlrev_b64 v[8:9], 3, v[10:11]
	v_mov_b32_e32 v10, v13
	v_mad_u64_u32 v[10:11], s[2:3], s13, v14, v[10:11]
	v_add_co_u32_e32 v8, vcc, v53, v8
	v_addc_co_u32_e32 v9, vcc, v54, v9, vcc
	v_mov_b32_e32 v13, v10
	global_store_dwordx2 v[8:9], v[32:33], off
	v_lshlrev_b64 v[8:9], 3, v[12:13]
	v_add_u32_e32 v12, 0x5a9, v72
	v_mad_u64_u32 v[10:11], s[2:3], s12, v12, 0
	v_add_u32_e32 v13, 0xfc, v72
	s_mov_b32 s1, 0xa01a01a1
	v_mul_hi_u32 v14, v13, s1
	v_mad_u64_u32 v[11:12], s[2:3], s13, v12, v[11:12]
	s_movk_i32 s0, 0x4ec
	v_sub_u32_e32 v12, v13, v14
	v_lshrrev_b32_e32 v12, 1, v12
	v_add_u32_e32 v12, v12, v14
	v_lshrrev_b32_e32 v12, 8, v12
	v_mad_u32_u24 v14, v12, s0, v13
	v_mad_u64_u32 v[12:13], s[0:1], s12, v14, 0
	v_add_co_u32_e32 v8, vcc, v53, v8
	v_addc_co_u32_e32 v9, vcc, v54, v9, vcc
	global_store_dwordx2 v[8:9], v[28:29], off
	v_lshlrev_b64 v[8:9], 3, v[10:11]
	v_mov_b32_e32 v10, v13
	v_mad_u64_u32 v[10:11], s[0:1], s13, v14, v[10:11]
	v_add_co_u32_e32 v8, vcc, v53, v8
	v_addc_co_u32_e32 v9, vcc, v54, v9, vcc
	v_mov_b32_e32 v13, v10
	global_store_dwordx2 v[8:9], v[30:31], off
	v_lshlrev_b64 v[8:9], 3, v[12:13]
	v_add_u32_e32 v12, 0x13b, v14
	v_mad_u64_u32 v[10:11], s[0:1], s12, v12, 0
	v_add_u32_e32 v15, 0x276, v14
	v_add_co_u32_e32 v8, vcc, v53, v8
	v_mad_u64_u32 v[11:12], s[0:1], s13, v12, v[11:12]
	v_mad_u64_u32 v[12:13], s[0:1], s12, v15, 0
	v_addc_co_u32_e32 v9, vcc, v54, v9, vcc
	global_store_dwordx2 v[8:9], v[24:25], off
	v_lshlrev_b64 v[8:9], 3, v[10:11]
	v_mov_b32_e32 v10, v13
	v_mad_u64_u32 v[10:11], s[0:1], s13, v15, v[10:11]
	v_add_co_u32_e32 v8, vcc, v53, v8
	v_addc_co_u32_e32 v9, vcc, v54, v9, vcc
	v_mov_b32_e32 v13, v10
	v_add_u32_e32 v10, 0x3b1, v14
	global_store_dwordx2 v[8:9], v[6:7], off
	v_mad_u64_u32 v[8:9], s[0:1], s12, v10, 0
	v_lshlrev_b64 v[6:7], 3, v[12:13]
	v_add_u32_e32 v12, 0x4ec, v14
	v_mad_u64_u32 v[9:10], s[0:1], s13, v10, v[9:10]
	v_mad_u64_u32 v[10:11], s[0:1], s12, v12, 0
	v_add_co_u32_e32 v6, vcc, v53, v6
	v_addc_co_u32_e32 v7, vcc, v54, v7, vcc
	global_store_dwordx2 v[6:7], v[4:5], off
	v_mov_b32_e32 v6, v11
	v_mad_u64_u32 v[6:7], s[0:1], s13, v12, v[6:7]
	v_lshlrev_b64 v[4:5], 3, v[8:9]
	v_add_co_u32_e32 v4, vcc, v53, v4
	v_addc_co_u32_e32 v5, vcc, v54, v5, vcc
	v_mov_b32_e32 v11, v6
	global_store_dwordx2 v[4:5], v[2:3], off
	v_lshlrev_b64 v[2:3], 3, v[10:11]
	v_add_co_u32_e32 v2, vcc, v53, v2
	v_addc_co_u32_e32 v3, vcc, v54, v3, vcc
	global_store_dwordx2 v[2:3], v[0:1], off
.LBB0_37:
	s_endpgm
	.section	.rodata,"a",@progbits
	.p2align	6, 0x0
	.amdhsa_kernel fft_rtc_back_len1575_factors_3_3_5_7_5_wgs_63_tpt_63_halfLds_sp_ip_CI_sbrr_dirReg
		.amdhsa_group_segment_fixed_size 0
		.amdhsa_private_segment_fixed_size 0
		.amdhsa_kernarg_size 88
		.amdhsa_user_sgpr_count 6
		.amdhsa_user_sgpr_private_segment_buffer 1
		.amdhsa_user_sgpr_dispatch_ptr 0
		.amdhsa_user_sgpr_queue_ptr 0
		.amdhsa_user_sgpr_kernarg_segment_ptr 1
		.amdhsa_user_sgpr_dispatch_id 0
		.amdhsa_user_sgpr_flat_scratch_init 0
		.amdhsa_user_sgpr_private_segment_size 0
		.amdhsa_uses_dynamic_stack 0
		.amdhsa_system_sgpr_private_segment_wavefront_offset 0
		.amdhsa_system_sgpr_workgroup_id_x 1
		.amdhsa_system_sgpr_workgroup_id_y 0
		.amdhsa_system_sgpr_workgroup_id_z 0
		.amdhsa_system_sgpr_workgroup_info 0
		.amdhsa_system_vgpr_workitem_id 0
		.amdhsa_next_free_vgpr 144
		.amdhsa_next_free_sgpr 24
		.amdhsa_reserve_vcc 1
		.amdhsa_reserve_flat_scratch 0
		.amdhsa_float_round_mode_32 0
		.amdhsa_float_round_mode_16_64 0
		.amdhsa_float_denorm_mode_32 3
		.amdhsa_float_denorm_mode_16_64 3
		.amdhsa_dx10_clamp 1
		.amdhsa_ieee_mode 1
		.amdhsa_fp16_overflow 0
		.amdhsa_exception_fp_ieee_invalid_op 0
		.amdhsa_exception_fp_denorm_src 0
		.amdhsa_exception_fp_ieee_div_zero 0
		.amdhsa_exception_fp_ieee_overflow 0
		.amdhsa_exception_fp_ieee_underflow 0
		.amdhsa_exception_fp_ieee_inexact 0
		.amdhsa_exception_int_div_zero 0
	.end_amdhsa_kernel
	.text
.Lfunc_end0:
	.size	fft_rtc_back_len1575_factors_3_3_5_7_5_wgs_63_tpt_63_halfLds_sp_ip_CI_sbrr_dirReg, .Lfunc_end0-fft_rtc_back_len1575_factors_3_3_5_7_5_wgs_63_tpt_63_halfLds_sp_ip_CI_sbrr_dirReg
                                        ; -- End function
	.section	.AMDGPU.csdata,"",@progbits
; Kernel info:
; codeLenInByte = 17380
; NumSgprs: 28
; NumVgprs: 144
; ScratchSize: 0
; MemoryBound: 0
; FloatMode: 240
; IeeeMode: 1
; LDSByteSize: 0 bytes/workgroup (compile time only)
; SGPRBlocks: 3
; VGPRBlocks: 35
; NumSGPRsForWavesPerEU: 28
; NumVGPRsForWavesPerEU: 144
; Occupancy: 1
; WaveLimiterHint : 1
; COMPUTE_PGM_RSRC2:SCRATCH_EN: 0
; COMPUTE_PGM_RSRC2:USER_SGPR: 6
; COMPUTE_PGM_RSRC2:TRAP_HANDLER: 0
; COMPUTE_PGM_RSRC2:TGID_X_EN: 1
; COMPUTE_PGM_RSRC2:TGID_Y_EN: 0
; COMPUTE_PGM_RSRC2:TGID_Z_EN: 0
; COMPUTE_PGM_RSRC2:TIDIG_COMP_CNT: 0
	.type	__hip_cuid_ae79cf8513362233,@object ; @__hip_cuid_ae79cf8513362233
	.section	.bss,"aw",@nobits
	.globl	__hip_cuid_ae79cf8513362233
__hip_cuid_ae79cf8513362233:
	.byte	0                               ; 0x0
	.size	__hip_cuid_ae79cf8513362233, 1

	.ident	"AMD clang version 19.0.0git (https://github.com/RadeonOpenCompute/llvm-project roc-6.4.0 25133 c7fe45cf4b819c5991fe208aaa96edf142730f1d)"
	.section	".note.GNU-stack","",@progbits
	.addrsig
	.addrsig_sym __hip_cuid_ae79cf8513362233
	.amdgpu_metadata
---
amdhsa.kernels:
  - .args:
      - .actual_access:  read_only
        .address_space:  global
        .offset:         0
        .size:           8
        .value_kind:     global_buffer
      - .offset:         8
        .size:           8
        .value_kind:     by_value
      - .actual_access:  read_only
        .address_space:  global
        .offset:         16
        .size:           8
        .value_kind:     global_buffer
      - .actual_access:  read_only
        .address_space:  global
        .offset:         24
        .size:           8
        .value_kind:     global_buffer
      - .offset:         32
        .size:           8
        .value_kind:     by_value
      - .actual_access:  read_only
        .address_space:  global
        .offset:         40
        .size:           8
        .value_kind:     global_buffer
      - .actual_access:  read_only
        .address_space:  global
        .offset:         48
        .size:           8
        .value_kind:     global_buffer
      - .offset:         56
        .size:           4
        .value_kind:     by_value
      - .actual_access:  read_only
        .address_space:  global
        .offset:         64
        .size:           8
        .value_kind:     global_buffer
      - .actual_access:  read_only
        .address_space:  global
        .offset:         72
        .size:           8
        .value_kind:     global_buffer
      - .address_space:  global
        .offset:         80
        .size:           8
        .value_kind:     global_buffer
    .group_segment_fixed_size: 0
    .kernarg_segment_align: 8
    .kernarg_segment_size: 88
    .language:       OpenCL C
    .language_version:
      - 2
      - 0
    .max_flat_workgroup_size: 63
    .name:           fft_rtc_back_len1575_factors_3_3_5_7_5_wgs_63_tpt_63_halfLds_sp_ip_CI_sbrr_dirReg
    .private_segment_fixed_size: 0
    .sgpr_count:     28
    .sgpr_spill_count: 0
    .symbol:         fft_rtc_back_len1575_factors_3_3_5_7_5_wgs_63_tpt_63_halfLds_sp_ip_CI_sbrr_dirReg.kd
    .uniform_work_group_size: 1
    .uses_dynamic_stack: false
    .vgpr_count:     144
    .vgpr_spill_count: 0
    .wavefront_size: 64
amdhsa.target:   amdgcn-amd-amdhsa--gfx906
amdhsa.version:
  - 1
  - 2
...

	.end_amdgpu_metadata
